;; amdgpu-corpus repo=ROCm/hipCUB kind=compiled arch=gfx942 opt=O3
	.text
	.amdgcn_target "amdgcn-amd-amdhsa--gfx942"
	.amdhsa_code_object_version 6
	.section	.text._Z6kernelI14inclusive_scanILN6hipcub18BlockScanAlgorithmE1EEiLj64ELj1ELj100EEvPKT0_PS4_S4_,"axG",@progbits,_Z6kernelI14inclusive_scanILN6hipcub18BlockScanAlgorithmE1EEiLj64ELj1ELj100EEvPKT0_PS4_S4_,comdat
	.protected	_Z6kernelI14inclusive_scanILN6hipcub18BlockScanAlgorithmE1EEiLj64ELj1ELj100EEvPKT0_PS4_S4_ ; -- Begin function _Z6kernelI14inclusive_scanILN6hipcub18BlockScanAlgorithmE1EEiLj64ELj1ELj100EEvPKT0_PS4_S4_
	.globl	_Z6kernelI14inclusive_scanILN6hipcub18BlockScanAlgorithmE1EEiLj64ELj1ELj100EEvPKT0_PS4_S4_
	.p2align	8
	.type	_Z6kernelI14inclusive_scanILN6hipcub18BlockScanAlgorithmE1EEiLj64ELj1ELj100EEvPKT0_PS4_S4_,@function
_Z6kernelI14inclusive_scanILN6hipcub18BlockScanAlgorithmE1EEiLj64ELj1ELj100EEvPKT0_PS4_S4_: ; @_Z6kernelI14inclusive_scanILN6hipcub18BlockScanAlgorithmE1EEiLj64ELj1ELj100EEvPKT0_PS4_S4_
; %bb.0:
	s_load_dwordx4 s[12:15], s[0:1], 0x0
	s_load_dword s3, s[0:1], 0x24
	v_mov_b32_e32 v3, 0
	v_cmp_eq_u32_e64 s[10:11], 63, v0
	s_movk_i32 s16, 0x64
	s_waitcnt lgkmcnt(0)
	v_mov_b32_e32 v4, s12
	s_and_b32 s0, s3, 0xffff
	s_mul_i32 s2, s2, s0
	v_mov_b32_e32 v5, s13
	v_add_u32_e32 v2, s2, v0
	v_lshl_add_u64 v[4:5], v[2:3], 2, v[4:5]
	global_load_dword v1, v[4:5], off
	v_mbcnt_lo_u32_b32 v4, -1, 0
	v_mbcnt_hi_u32_b32 v4, -1, v4
	v_and_b32_e32 v5, 15, v4
	v_cmp_eq_u32_e32 vcc, 0, v5
	v_cmp_lt_u32_e64 s[0:1], 1, v5
	v_cmp_lt_u32_e64 s[2:3], 3, v5
	;; [unrolled: 1-line block ×3, first 2 shown]
	v_and_b32_e32 v5, 16, v4
	v_cmp_eq_u32_e64 s[6:7], 0, v5
	v_cmp_lt_u32_e64 s[8:9], 31, v4
	s_branch .LBB0_2
.LBB0_1:                                ;   in Loop: Header=BB0_2 Depth=1
	s_or_b64 exec, exec, s[12:13]
	s_add_i32 s16, s16, -1
	s_cmp_lg_u32 s16, 0
	s_waitcnt lgkmcnt(0)
	; wave barrier
	s_waitcnt lgkmcnt(0)
	s_cbranch_scc0 .LBB0_4
.LBB0_2:                                ; =>This Inner Loop Header: Depth=1
	s_waitcnt vmcnt(0)
	v_mov_b32_dpp v0, v1 row_shr:1 row_mask:0xf bank_mask:0xf
	v_cndmask_b32_e64 v0, v0, 0, vcc
	v_add_u32_e32 v0, v0, v1
	s_nop 1
	v_mov_b32_dpp v1, v0 row_shr:2 row_mask:0xf bank_mask:0xf
	v_cndmask_b32_e64 v1, 0, v1, s[0:1]
	v_add_u32_e32 v0, v0, v1
	s_nop 1
	v_mov_b32_dpp v1, v0 row_shr:4 row_mask:0xf bank_mask:0xf
	v_cndmask_b32_e64 v1, 0, v1, s[2:3]
	;; [unrolled: 4-line block ×3, first 2 shown]
	v_add_u32_e32 v0, v0, v1
	s_nop 1
	v_mov_b32_dpp v1, v0 row_bcast:15 row_mask:0xf bank_mask:0xf
	v_cndmask_b32_e64 v1, v1, 0, s[6:7]
	v_add_u32_e32 v0, v0, v1
	s_nop 1
	v_mov_b32_dpp v1, v0 row_bcast:31 row_mask:0xf bank_mask:0xf
	v_cndmask_b32_e64 v1, 0, v1, s[8:9]
	v_add_u32_e32 v1, v0, v1
	s_and_saveexec_b64 s[12:13], s[10:11]
	s_cbranch_execz .LBB0_1
; %bb.3:                                ;   in Loop: Header=BB0_2 Depth=1
	ds_write_b32 v3, v1
	s_branch .LBB0_1
.LBB0_4:
	v_mov_b32_e32 v4, s14
	v_mov_b32_e32 v5, s15
	v_lshl_add_u64 v[2:3], v[2:3], 2, v[4:5]
	global_store_dword v[2:3], v1, off
	s_endpgm
	.section	.rodata,"a",@progbits
	.p2align	6, 0x0
	.amdhsa_kernel _Z6kernelI14inclusive_scanILN6hipcub18BlockScanAlgorithmE1EEiLj64ELj1ELj100EEvPKT0_PS4_S4_
		.amdhsa_group_segment_fixed_size 4
		.amdhsa_private_segment_fixed_size 0
		.amdhsa_kernarg_size 280
		.amdhsa_user_sgpr_count 2
		.amdhsa_user_sgpr_dispatch_ptr 0
		.amdhsa_user_sgpr_queue_ptr 0
		.amdhsa_user_sgpr_kernarg_segment_ptr 1
		.amdhsa_user_sgpr_dispatch_id 0
		.amdhsa_user_sgpr_kernarg_preload_length 0
		.amdhsa_user_sgpr_kernarg_preload_offset 0
		.amdhsa_user_sgpr_private_segment_size 0
		.amdhsa_uses_dynamic_stack 0
		.amdhsa_enable_private_segment 0
		.amdhsa_system_sgpr_workgroup_id_x 1
		.amdhsa_system_sgpr_workgroup_id_y 0
		.amdhsa_system_sgpr_workgroup_id_z 0
		.amdhsa_system_sgpr_workgroup_info 0
		.amdhsa_system_vgpr_workitem_id 0
		.amdhsa_next_free_vgpr 6
		.amdhsa_next_free_sgpr 17
		.amdhsa_accum_offset 8
		.amdhsa_reserve_vcc 1
		.amdhsa_float_round_mode_32 0
		.amdhsa_float_round_mode_16_64 0
		.amdhsa_float_denorm_mode_32 3
		.amdhsa_float_denorm_mode_16_64 3
		.amdhsa_dx10_clamp 1
		.amdhsa_ieee_mode 1
		.amdhsa_fp16_overflow 0
		.amdhsa_tg_split 0
		.amdhsa_exception_fp_ieee_invalid_op 0
		.amdhsa_exception_fp_denorm_src 0
		.amdhsa_exception_fp_ieee_div_zero 0
		.amdhsa_exception_fp_ieee_overflow 0
		.amdhsa_exception_fp_ieee_underflow 0
		.amdhsa_exception_fp_ieee_inexact 0
		.amdhsa_exception_int_div_zero 0
	.end_amdhsa_kernel
	.section	.text._Z6kernelI14inclusive_scanILN6hipcub18BlockScanAlgorithmE1EEiLj64ELj1ELj100EEvPKT0_PS4_S4_,"axG",@progbits,_Z6kernelI14inclusive_scanILN6hipcub18BlockScanAlgorithmE1EEiLj64ELj1ELj100EEvPKT0_PS4_S4_,comdat
.Lfunc_end0:
	.size	_Z6kernelI14inclusive_scanILN6hipcub18BlockScanAlgorithmE1EEiLj64ELj1ELj100EEvPKT0_PS4_S4_, .Lfunc_end0-_Z6kernelI14inclusive_scanILN6hipcub18BlockScanAlgorithmE1EEiLj64ELj1ELj100EEvPKT0_PS4_S4_
                                        ; -- End function
	.section	.AMDGPU.csdata,"",@progbits
; Kernel info:
; codeLenInByte = 364
; NumSgprs: 23
; NumVgprs: 6
; NumAgprs: 0
; TotalNumVgprs: 6
; ScratchSize: 0
; MemoryBound: 0
; FloatMode: 240
; IeeeMode: 1
; LDSByteSize: 4 bytes/workgroup (compile time only)
; SGPRBlocks: 2
; VGPRBlocks: 0
; NumSGPRsForWavesPerEU: 23
; NumVGPRsForWavesPerEU: 6
; AccumOffset: 8
; Occupancy: 8
; WaveLimiterHint : 0
; COMPUTE_PGM_RSRC2:SCRATCH_EN: 0
; COMPUTE_PGM_RSRC2:USER_SGPR: 2
; COMPUTE_PGM_RSRC2:TRAP_HANDLER: 0
; COMPUTE_PGM_RSRC2:TGID_X_EN: 1
; COMPUTE_PGM_RSRC2:TGID_Y_EN: 0
; COMPUTE_PGM_RSRC2:TGID_Z_EN: 0
; COMPUTE_PGM_RSRC2:TIDIG_COMP_CNT: 0
; COMPUTE_PGM_RSRC3_GFX90A:ACCUM_OFFSET: 1
; COMPUTE_PGM_RSRC3_GFX90A:TG_SPLIT: 0
	.section	.text._Z6kernelI14inclusive_scanILN6hipcub18BlockScanAlgorithmE1EEiLj64ELj3ELj100EEvPKT0_PS4_S4_,"axG",@progbits,_Z6kernelI14inclusive_scanILN6hipcub18BlockScanAlgorithmE1EEiLj64ELj3ELj100EEvPKT0_PS4_S4_,comdat
	.protected	_Z6kernelI14inclusive_scanILN6hipcub18BlockScanAlgorithmE1EEiLj64ELj3ELj100EEvPKT0_PS4_S4_ ; -- Begin function _Z6kernelI14inclusive_scanILN6hipcub18BlockScanAlgorithmE1EEiLj64ELj3ELj100EEvPKT0_PS4_S4_
	.globl	_Z6kernelI14inclusive_scanILN6hipcub18BlockScanAlgorithmE1EEiLj64ELj3ELj100EEvPKT0_PS4_S4_
	.p2align	8
	.type	_Z6kernelI14inclusive_scanILN6hipcub18BlockScanAlgorithmE1EEiLj64ELj3ELj100EEvPKT0_PS4_S4_,@function
_Z6kernelI14inclusive_scanILN6hipcub18BlockScanAlgorithmE1EEiLj64ELj3ELj100EEvPKT0_PS4_S4_: ; @_Z6kernelI14inclusive_scanILN6hipcub18BlockScanAlgorithmE1EEiLj64ELj3ELj100EEvPKT0_PS4_S4_
; %bb.0:
	s_load_dword s3, s[0:1], 0x24
	s_load_dwordx4 s[12:15], s[0:1], 0x0
	v_mov_b32_e32 v3, 0
	v_mov_b32_e32 v5, v3
	;; [unrolled: 1-line block ×3, first 2 shown]
	s_waitcnt lgkmcnt(0)
	s_and_b32 s0, s3, 0xffff
	s_mul_i32 s2, s2, s0
	v_add_u32_e32 v1, s2, v0
	v_lshl_add_u32 v2, v1, 1, v1
	v_lshl_add_u64 v[10:11], v[2:3], 2, s[12:13]
	v_add_u32_e32 v4, 1, v2
	v_add_u32_e32 v6, 2, v2
	v_lshl_add_u64 v[12:13], v[4:5], 2, s[12:13]
	v_lshl_add_u64 v[14:15], v[6:7], 2, s[12:13]
	global_load_dword v9, v[10:11], off
	global_load_dword v8, v[12:13], off
	;; [unrolled: 1-line block ×3, first 2 shown]
	v_mbcnt_lo_u32_b32 v10, -1, 0
	v_mbcnt_hi_u32_b32 v10, -1, v10
	v_and_b32_e32 v11, 15, v10
	v_cmp_eq_u32_e32 vcc, 0, v11
	v_cmp_lt_u32_e64 s[0:1], 1, v11
	v_cmp_lt_u32_e64 s[2:3], 3, v11
	;; [unrolled: 1-line block ×3, first 2 shown]
	v_and_b32_e32 v11, 16, v10
	v_cmp_eq_u32_e64 s[6:7], 0, v11
	v_add_u32_e32 v11, -1, v10
	v_and_b32_e32 v12, 64, v10
	v_cmp_lt_i32_e64 s[12:13], v11, v12
	v_cmp_lt_u32_e64 s[8:9], 31, v10
	v_cmp_eq_u32_e64 s[10:11], 63, v0
	v_cndmask_b32_e64 v10, v11, v10, s[12:13]
	v_lshlrev_b32_e32 v10, 2, v10
	v_cmp_eq_u32_e64 s[12:13], 0, v0
	s_movk_i32 s18, 0x64
	s_branch .LBB1_2
.LBB1_1:                                ;   in Loop: Header=BB1_2 Depth=1
	s_or_b64 exec, exec, s[16:17]
	ds_bpermute_b32 v0, v10, v0
	s_add_i32 s18, s18, -1
	s_cmp_lg_u32 s18, 0
	s_waitcnt lgkmcnt(0)
	; wave barrier
	s_waitcnt lgkmcnt(0)
	v_cndmask_b32_e64 v0, v0, 0, s[12:13]
	v_add_u32_e32 v9, v0, v9
	v_add_u32_e32 v8, v9, v8
	;; [unrolled: 1-line block ×3, first 2 shown]
	s_cbranch_scc0 .LBB1_4
.LBB1_2:                                ; =>This Inner Loop Header: Depth=1
	s_waitcnt vmcnt(0)
	v_add3_u32 v0, v8, v9, v1
	s_nop 1
	v_mov_b32_dpp v11, v0 row_shr:1 row_mask:0xf bank_mask:0xf
	v_cndmask_b32_e64 v11, v11, 0, vcc
	v_add_u32_e32 v0, v0, v11
	s_nop 1
	v_mov_b32_dpp v11, v0 row_shr:2 row_mask:0xf bank_mask:0xf
	v_cndmask_b32_e64 v11, 0, v11, s[0:1]
	v_add_u32_e32 v0, v0, v11
	s_nop 1
	v_mov_b32_dpp v11, v0 row_shr:4 row_mask:0xf bank_mask:0xf
	v_cndmask_b32_e64 v11, 0, v11, s[2:3]
	;; [unrolled: 4-line block ×3, first 2 shown]
	v_add_u32_e32 v0, v0, v11
	s_nop 1
	v_mov_b32_dpp v11, v0 row_bcast:15 row_mask:0xf bank_mask:0xf
	v_cndmask_b32_e64 v11, v11, 0, s[6:7]
	v_add_u32_e32 v0, v0, v11
	s_nop 1
	v_mov_b32_dpp v11, v0 row_bcast:31 row_mask:0xf bank_mask:0xf
	v_cndmask_b32_e64 v11, 0, v11, s[8:9]
	v_add_u32_e32 v0, v0, v11
	s_and_saveexec_b64 s[16:17], s[10:11]
	s_cbranch_execz .LBB1_1
; %bb.3:                                ;   in Loop: Header=BB1_2 Depth=1
	ds_write_b32 v3, v0
	s_branch .LBB1_1
.LBB1_4:
	v_lshl_add_u64 v[2:3], v[2:3], 2, s[14:15]
	global_store_dword v[2:3], v9, off
	v_lshl_add_u64 v[2:3], v[4:5], 2, s[14:15]
	global_store_dword v[2:3], v8, off
	;; [unrolled: 2-line block ×3, first 2 shown]
	s_endpgm
	.section	.rodata,"a",@progbits
	.p2align	6, 0x0
	.amdhsa_kernel _Z6kernelI14inclusive_scanILN6hipcub18BlockScanAlgorithmE1EEiLj64ELj3ELj100EEvPKT0_PS4_S4_
		.amdhsa_group_segment_fixed_size 4
		.amdhsa_private_segment_fixed_size 0
		.amdhsa_kernarg_size 280
		.amdhsa_user_sgpr_count 2
		.amdhsa_user_sgpr_dispatch_ptr 0
		.amdhsa_user_sgpr_queue_ptr 0
		.amdhsa_user_sgpr_kernarg_segment_ptr 1
		.amdhsa_user_sgpr_dispatch_id 0
		.amdhsa_user_sgpr_kernarg_preload_length 0
		.amdhsa_user_sgpr_kernarg_preload_offset 0
		.amdhsa_user_sgpr_private_segment_size 0
		.amdhsa_uses_dynamic_stack 0
		.amdhsa_enable_private_segment 0
		.amdhsa_system_sgpr_workgroup_id_x 1
		.amdhsa_system_sgpr_workgroup_id_y 0
		.amdhsa_system_sgpr_workgroup_id_z 0
		.amdhsa_system_sgpr_workgroup_info 0
		.amdhsa_system_vgpr_workitem_id 0
		.amdhsa_next_free_vgpr 16
		.amdhsa_next_free_sgpr 19
		.amdhsa_accum_offset 16
		.amdhsa_reserve_vcc 1
		.amdhsa_float_round_mode_32 0
		.amdhsa_float_round_mode_16_64 0
		.amdhsa_float_denorm_mode_32 3
		.amdhsa_float_denorm_mode_16_64 3
		.amdhsa_dx10_clamp 1
		.amdhsa_ieee_mode 1
		.amdhsa_fp16_overflow 0
		.amdhsa_tg_split 0
		.amdhsa_exception_fp_ieee_invalid_op 0
		.amdhsa_exception_fp_denorm_src 0
		.amdhsa_exception_fp_ieee_div_zero 0
		.amdhsa_exception_fp_ieee_overflow 0
		.amdhsa_exception_fp_ieee_underflow 0
		.amdhsa_exception_fp_ieee_inexact 0
		.amdhsa_exception_int_div_zero 0
	.end_amdhsa_kernel
	.section	.text._Z6kernelI14inclusive_scanILN6hipcub18BlockScanAlgorithmE1EEiLj64ELj3ELj100EEvPKT0_PS4_S4_,"axG",@progbits,_Z6kernelI14inclusive_scanILN6hipcub18BlockScanAlgorithmE1EEiLj64ELj3ELj100EEvPKT0_PS4_S4_,comdat
.Lfunc_end1:
	.size	_Z6kernelI14inclusive_scanILN6hipcub18BlockScanAlgorithmE1EEiLj64ELj3ELj100EEvPKT0_PS4_S4_, .Lfunc_end1-_Z6kernelI14inclusive_scanILN6hipcub18BlockScanAlgorithmE1EEiLj64ELj3ELj100EEvPKT0_PS4_S4_
                                        ; -- End function
	.section	.AMDGPU.csdata,"",@progbits
; Kernel info:
; codeLenInByte = 512
; NumSgprs: 25
; NumVgprs: 16
; NumAgprs: 0
; TotalNumVgprs: 16
; ScratchSize: 0
; MemoryBound: 0
; FloatMode: 240
; IeeeMode: 1
; LDSByteSize: 4 bytes/workgroup (compile time only)
; SGPRBlocks: 3
; VGPRBlocks: 1
; NumSGPRsForWavesPerEU: 25
; NumVGPRsForWavesPerEU: 16
; AccumOffset: 16
; Occupancy: 8
; WaveLimiterHint : 0
; COMPUTE_PGM_RSRC2:SCRATCH_EN: 0
; COMPUTE_PGM_RSRC2:USER_SGPR: 2
; COMPUTE_PGM_RSRC2:TRAP_HANDLER: 0
; COMPUTE_PGM_RSRC2:TGID_X_EN: 1
; COMPUTE_PGM_RSRC2:TGID_Y_EN: 0
; COMPUTE_PGM_RSRC2:TGID_Z_EN: 0
; COMPUTE_PGM_RSRC2:TIDIG_COMP_CNT: 0
; COMPUTE_PGM_RSRC3_GFX90A:ACCUM_OFFSET: 3
; COMPUTE_PGM_RSRC3_GFX90A:TG_SPLIT: 0
	.section	.text._Z6kernelI14inclusive_scanILN6hipcub18BlockScanAlgorithmE1EEiLj64ELj4ELj100EEvPKT0_PS4_S4_,"axG",@progbits,_Z6kernelI14inclusive_scanILN6hipcub18BlockScanAlgorithmE1EEiLj64ELj4ELj100EEvPKT0_PS4_S4_,comdat
	.protected	_Z6kernelI14inclusive_scanILN6hipcub18BlockScanAlgorithmE1EEiLj64ELj4ELj100EEvPKT0_PS4_S4_ ; -- Begin function _Z6kernelI14inclusive_scanILN6hipcub18BlockScanAlgorithmE1EEiLj64ELj4ELj100EEvPKT0_PS4_S4_
	.globl	_Z6kernelI14inclusive_scanILN6hipcub18BlockScanAlgorithmE1EEiLj64ELj4ELj100EEvPKT0_PS4_S4_
	.p2align	8
	.type	_Z6kernelI14inclusive_scanILN6hipcub18BlockScanAlgorithmE1EEiLj64ELj4ELj100EEvPKT0_PS4_S4_,@function
_Z6kernelI14inclusive_scanILN6hipcub18BlockScanAlgorithmE1EEiLj64ELj4ELj100EEvPKT0_PS4_S4_: ; @_Z6kernelI14inclusive_scanILN6hipcub18BlockScanAlgorithmE1EEiLj64ELj4ELj100EEvPKT0_PS4_S4_
; %bb.0:
	s_load_dwordx4 s[12:15], s[0:1], 0x0
	s_load_dword s3, s[0:1], 0x24
	v_mov_b32_e32 v7, 0
	v_mbcnt_lo_u32_b32 v1, -1, 0
	v_mbcnt_hi_u32_b32 v1, -1, v1
	s_waitcnt lgkmcnt(0)
	v_mov_b32_e32 v2, s12
	s_and_b32 s0, s3, 0xffff
	s_mul_i32 s2, s2, s0
	v_mov_b32_e32 v3, s13
	v_add_lshl_u32 v6, s2, v0, 2
	v_lshl_add_u64 v[2:3], v[6:7], 2, v[2:3]
	global_load_dwordx4 v[2:5], v[2:3], off
	v_and_b32_e32 v8, 15, v1
	v_cmp_eq_u32_e32 vcc, 0, v8
	v_cmp_lt_u32_e64 s[0:1], 1, v8
	v_cmp_lt_u32_e64 s[2:3], 3, v8
	;; [unrolled: 1-line block ×3, first 2 shown]
	v_and_b32_e32 v8, 16, v1
	v_cmp_eq_u32_e64 s[6:7], 0, v8
	v_add_u32_e32 v8, -1, v1
	v_and_b32_e32 v9, 64, v1
	v_cmp_lt_i32_e64 s[12:13], v8, v9
	v_cmp_lt_u32_e64 s[8:9], 31, v1
	v_cmp_eq_u32_e64 s[10:11], 63, v0
	v_cndmask_b32_e64 v1, v8, v1, s[12:13]
	v_lshlrev_b32_e32 v1, 2, v1
	v_cmp_eq_u32_e64 s[12:13], 0, v0
	s_movk_i32 s18, 0x64
	s_branch .LBB2_2
.LBB2_1:                                ;   in Loop: Header=BB2_2 Depth=1
	s_or_b64 exec, exec, s[16:17]
	ds_bpermute_b32 v0, v1, v0
	s_add_i32 s18, s18, -1
	s_cmp_lg_u32 s18, 0
	s_waitcnt lgkmcnt(0)
	; wave barrier
	s_waitcnt lgkmcnt(0)
	v_cndmask_b32_e64 v0, v0, 0, s[12:13]
	v_add_u32_e32 v2, v0, v2
	v_add_u32_e32 v3, v2, v3
	;; [unrolled: 1-line block ×4, first 2 shown]
	s_cbranch_scc0 .LBB2_4
.LBB2_2:                                ; =>This Inner Loop Header: Depth=1
	s_waitcnt vmcnt(0)
	v_add_u32_e32 v0, v3, v2
	v_add3_u32 v0, v0, v4, v5
	s_nop 1
	v_mov_b32_dpp v8, v0 row_shr:1 row_mask:0xf bank_mask:0xf
	v_cndmask_b32_e64 v8, v8, 0, vcc
	v_add_u32_e32 v0, v0, v8
	s_nop 1
	v_mov_b32_dpp v8, v0 row_shr:2 row_mask:0xf bank_mask:0xf
	v_cndmask_b32_e64 v8, 0, v8, s[0:1]
	v_add_u32_e32 v0, v0, v8
	s_nop 1
	v_mov_b32_dpp v8, v0 row_shr:4 row_mask:0xf bank_mask:0xf
	v_cndmask_b32_e64 v8, 0, v8, s[2:3]
	;; [unrolled: 4-line block ×3, first 2 shown]
	v_add_u32_e32 v0, v0, v8
	s_nop 1
	v_mov_b32_dpp v8, v0 row_bcast:15 row_mask:0xf bank_mask:0xf
	v_cndmask_b32_e64 v8, v8, 0, s[6:7]
	v_add_u32_e32 v0, v0, v8
	s_nop 1
	v_mov_b32_dpp v8, v0 row_bcast:31 row_mask:0xf bank_mask:0xf
	v_cndmask_b32_e64 v8, 0, v8, s[8:9]
	v_add_u32_e32 v0, v0, v8
	s_and_saveexec_b64 s[16:17], s[10:11]
	s_cbranch_execz .LBB2_1
; %bb.3:                                ;   in Loop: Header=BB2_2 Depth=1
	ds_write_b32 v7, v0
	s_branch .LBB2_1
.LBB2_4:
	v_mov_b32_e32 v0, s14
	v_mov_b32_e32 v1, s15
	v_lshl_add_u64 v[0:1], v[6:7], 2, v[0:1]
	global_store_dwordx4 v[0:1], v[2:5], off
	s_endpgm
	.section	.rodata,"a",@progbits
	.p2align	6, 0x0
	.amdhsa_kernel _Z6kernelI14inclusive_scanILN6hipcub18BlockScanAlgorithmE1EEiLj64ELj4ELj100EEvPKT0_PS4_S4_
		.amdhsa_group_segment_fixed_size 4
		.amdhsa_private_segment_fixed_size 0
		.amdhsa_kernarg_size 280
		.amdhsa_user_sgpr_count 2
		.amdhsa_user_sgpr_dispatch_ptr 0
		.amdhsa_user_sgpr_queue_ptr 0
		.amdhsa_user_sgpr_kernarg_segment_ptr 1
		.amdhsa_user_sgpr_dispatch_id 0
		.amdhsa_user_sgpr_kernarg_preload_length 0
		.amdhsa_user_sgpr_kernarg_preload_offset 0
		.amdhsa_user_sgpr_private_segment_size 0
		.amdhsa_uses_dynamic_stack 0
		.amdhsa_enable_private_segment 0
		.amdhsa_system_sgpr_workgroup_id_x 1
		.amdhsa_system_sgpr_workgroup_id_y 0
		.amdhsa_system_sgpr_workgroup_id_z 0
		.amdhsa_system_sgpr_workgroup_info 0
		.amdhsa_system_vgpr_workitem_id 0
		.amdhsa_next_free_vgpr 10
		.amdhsa_next_free_sgpr 19
		.amdhsa_accum_offset 12
		.amdhsa_reserve_vcc 1
		.amdhsa_float_round_mode_32 0
		.amdhsa_float_round_mode_16_64 0
		.amdhsa_float_denorm_mode_32 3
		.amdhsa_float_denorm_mode_16_64 3
		.amdhsa_dx10_clamp 1
		.amdhsa_ieee_mode 1
		.amdhsa_fp16_overflow 0
		.amdhsa_tg_split 0
		.amdhsa_exception_fp_ieee_invalid_op 0
		.amdhsa_exception_fp_denorm_src 0
		.amdhsa_exception_fp_ieee_div_zero 0
		.amdhsa_exception_fp_ieee_overflow 0
		.amdhsa_exception_fp_ieee_underflow 0
		.amdhsa_exception_fp_ieee_inexact 0
		.amdhsa_exception_int_div_zero 0
	.end_amdhsa_kernel
	.section	.text._Z6kernelI14inclusive_scanILN6hipcub18BlockScanAlgorithmE1EEiLj64ELj4ELj100EEvPKT0_PS4_S4_,"axG",@progbits,_Z6kernelI14inclusive_scanILN6hipcub18BlockScanAlgorithmE1EEiLj64ELj4ELj100EEvPKT0_PS4_S4_,comdat
.Lfunc_end2:
	.size	_Z6kernelI14inclusive_scanILN6hipcub18BlockScanAlgorithmE1EEiLj64ELj4ELj100EEvPKT0_PS4_S4_, .Lfunc_end2-_Z6kernelI14inclusive_scanILN6hipcub18BlockScanAlgorithmE1EEiLj64ELj4ELj100EEvPKT0_PS4_S4_
                                        ; -- End function
	.section	.AMDGPU.csdata,"",@progbits
; Kernel info:
; codeLenInByte = 452
; NumSgprs: 25
; NumVgprs: 10
; NumAgprs: 0
; TotalNumVgprs: 10
; ScratchSize: 0
; MemoryBound: 0
; FloatMode: 240
; IeeeMode: 1
; LDSByteSize: 4 bytes/workgroup (compile time only)
; SGPRBlocks: 3
; VGPRBlocks: 1
; NumSGPRsForWavesPerEU: 25
; NumVGPRsForWavesPerEU: 10
; AccumOffset: 12
; Occupancy: 8
; WaveLimiterHint : 0
; COMPUTE_PGM_RSRC2:SCRATCH_EN: 0
; COMPUTE_PGM_RSRC2:USER_SGPR: 2
; COMPUTE_PGM_RSRC2:TRAP_HANDLER: 0
; COMPUTE_PGM_RSRC2:TGID_X_EN: 1
; COMPUTE_PGM_RSRC2:TGID_Y_EN: 0
; COMPUTE_PGM_RSRC2:TGID_Z_EN: 0
; COMPUTE_PGM_RSRC2:TIDIG_COMP_CNT: 0
; COMPUTE_PGM_RSRC3_GFX90A:ACCUM_OFFSET: 2
; COMPUTE_PGM_RSRC3_GFX90A:TG_SPLIT: 0
	.section	.text._Z6kernelI14inclusive_scanILN6hipcub18BlockScanAlgorithmE1EEiLj64ELj8ELj100EEvPKT0_PS4_S4_,"axG",@progbits,_Z6kernelI14inclusive_scanILN6hipcub18BlockScanAlgorithmE1EEiLj64ELj8ELj100EEvPKT0_PS4_S4_,comdat
	.protected	_Z6kernelI14inclusive_scanILN6hipcub18BlockScanAlgorithmE1EEiLj64ELj8ELj100EEvPKT0_PS4_S4_ ; -- Begin function _Z6kernelI14inclusive_scanILN6hipcub18BlockScanAlgorithmE1EEiLj64ELj8ELj100EEvPKT0_PS4_S4_
	.globl	_Z6kernelI14inclusive_scanILN6hipcub18BlockScanAlgorithmE1EEiLj64ELj8ELj100EEvPKT0_PS4_S4_
	.p2align	8
	.type	_Z6kernelI14inclusive_scanILN6hipcub18BlockScanAlgorithmE1EEiLj64ELj8ELj100EEvPKT0_PS4_S4_,@function
_Z6kernelI14inclusive_scanILN6hipcub18BlockScanAlgorithmE1EEiLj64ELj8ELj100EEvPKT0_PS4_S4_: ; @_Z6kernelI14inclusive_scanILN6hipcub18BlockScanAlgorithmE1EEiLj64ELj8ELj100EEvPKT0_PS4_S4_
; %bb.0:
	s_load_dwordx4 s[12:15], s[0:1], 0x0
	s_load_dword s3, s[0:1], 0x24
	v_mov_b32_e32 v11, 0
	v_mbcnt_lo_u32_b32 v1, -1, 0
	v_mbcnt_hi_u32_b32 v1, -1, v1
	s_waitcnt lgkmcnt(0)
	v_mov_b32_e32 v2, s12
	s_and_b32 s0, s3, 0xffff
	s_mul_i32 s2, s2, s0
	v_mov_b32_e32 v3, s13
	v_add_lshl_u32 v10, s2, v0, 3
	v_lshl_add_u64 v[12:13], v[10:11], 2, v[2:3]
	global_load_dwordx4 v[6:9], v[12:13], off
	global_load_dwordx4 v[2:5], v[12:13], off offset:16
	v_and_b32_e32 v12, 15, v1
	v_cmp_eq_u32_e32 vcc, 0, v12
	v_cmp_lt_u32_e64 s[0:1], 1, v12
	v_cmp_lt_u32_e64 s[2:3], 3, v12
	;; [unrolled: 1-line block ×3, first 2 shown]
	v_and_b32_e32 v12, 16, v1
	v_cmp_eq_u32_e64 s[6:7], 0, v12
	v_add_u32_e32 v12, -1, v1
	v_and_b32_e32 v13, 64, v1
	v_cmp_lt_i32_e64 s[12:13], v12, v13
	v_cmp_lt_u32_e64 s[8:9], 31, v1
	v_cmp_eq_u32_e64 s[10:11], 63, v0
	v_cndmask_b32_e64 v1, v12, v1, s[12:13]
	v_lshlrev_b32_e32 v1, 2, v1
	v_cmp_eq_u32_e64 s[12:13], 0, v0
	s_movk_i32 s18, 0x64
	s_branch .LBB3_2
.LBB3_1:                                ;   in Loop: Header=BB3_2 Depth=1
	s_or_b64 exec, exec, s[16:17]
	ds_bpermute_b32 v0, v1, v0
	s_add_i32 s18, s18, -1
	s_cmp_lg_u32 s18, 0
	s_waitcnt lgkmcnt(0)
	; wave barrier
	s_waitcnt lgkmcnt(0)
	v_cndmask_b32_e64 v0, v0, 0, s[12:13]
	v_add_u32_e32 v6, v0, v6
	v_add_u32_e32 v7, v6, v7
	;; [unrolled: 1-line block ×8, first 2 shown]
	s_cbranch_scc0 .LBB3_4
.LBB3_2:                                ; =>This Inner Loop Header: Depth=1
	s_waitcnt vmcnt(1)
	v_add_u32_e32 v0, v7, v6
	v_add3_u32 v0, v0, v8, v9
	s_waitcnt vmcnt(0)
	v_add3_u32 v0, v0, v2, v3
	v_add3_u32 v0, v0, v4, v5
	s_nop 1
	v_mov_b32_dpp v12, v0 row_shr:1 row_mask:0xf bank_mask:0xf
	v_cndmask_b32_e64 v12, v12, 0, vcc
	v_add_u32_e32 v0, v0, v12
	s_nop 1
	v_mov_b32_dpp v12, v0 row_shr:2 row_mask:0xf bank_mask:0xf
	v_cndmask_b32_e64 v12, 0, v12, s[0:1]
	v_add_u32_e32 v0, v0, v12
	s_nop 1
	v_mov_b32_dpp v12, v0 row_shr:4 row_mask:0xf bank_mask:0xf
	v_cndmask_b32_e64 v12, 0, v12, s[2:3]
	;; [unrolled: 4-line block ×3, first 2 shown]
	v_add_u32_e32 v0, v0, v12
	s_nop 1
	v_mov_b32_dpp v12, v0 row_bcast:15 row_mask:0xf bank_mask:0xf
	v_cndmask_b32_e64 v12, v12, 0, s[6:7]
	v_add_u32_e32 v0, v0, v12
	s_nop 1
	v_mov_b32_dpp v12, v0 row_bcast:31 row_mask:0xf bank_mask:0xf
	v_cndmask_b32_e64 v12, 0, v12, s[8:9]
	v_add_u32_e32 v0, v0, v12
	s_and_saveexec_b64 s[16:17], s[10:11]
	s_cbranch_execz .LBB3_1
; %bb.3:                                ;   in Loop: Header=BB3_2 Depth=1
	ds_write_b32 v11, v0
	s_branch .LBB3_1
.LBB3_4:
	v_mov_b32_e32 v0, s14
	v_mov_b32_e32 v1, s15
	v_lshl_add_u64 v[0:1], v[10:11], 2, v[0:1]
	global_store_dwordx4 v[0:1], v[6:9], off
	global_store_dwordx4 v[0:1], v[2:5], off offset:16
	s_endpgm
	.section	.rodata,"a",@progbits
	.p2align	6, 0x0
	.amdhsa_kernel _Z6kernelI14inclusive_scanILN6hipcub18BlockScanAlgorithmE1EEiLj64ELj8ELj100EEvPKT0_PS4_S4_
		.amdhsa_group_segment_fixed_size 4
		.amdhsa_private_segment_fixed_size 0
		.amdhsa_kernarg_size 280
		.amdhsa_user_sgpr_count 2
		.amdhsa_user_sgpr_dispatch_ptr 0
		.amdhsa_user_sgpr_queue_ptr 0
		.amdhsa_user_sgpr_kernarg_segment_ptr 1
		.amdhsa_user_sgpr_dispatch_id 0
		.amdhsa_user_sgpr_kernarg_preload_length 0
		.amdhsa_user_sgpr_kernarg_preload_offset 0
		.amdhsa_user_sgpr_private_segment_size 0
		.amdhsa_uses_dynamic_stack 0
		.amdhsa_enable_private_segment 0
		.amdhsa_system_sgpr_workgroup_id_x 1
		.amdhsa_system_sgpr_workgroup_id_y 0
		.amdhsa_system_sgpr_workgroup_id_z 0
		.amdhsa_system_sgpr_workgroup_info 0
		.amdhsa_system_vgpr_workitem_id 0
		.amdhsa_next_free_vgpr 14
		.amdhsa_next_free_sgpr 19
		.amdhsa_accum_offset 16
		.amdhsa_reserve_vcc 1
		.amdhsa_float_round_mode_32 0
		.amdhsa_float_round_mode_16_64 0
		.amdhsa_float_denorm_mode_32 3
		.amdhsa_float_denorm_mode_16_64 3
		.amdhsa_dx10_clamp 1
		.amdhsa_ieee_mode 1
		.amdhsa_fp16_overflow 0
		.amdhsa_tg_split 0
		.amdhsa_exception_fp_ieee_invalid_op 0
		.amdhsa_exception_fp_denorm_src 0
		.amdhsa_exception_fp_ieee_div_zero 0
		.amdhsa_exception_fp_ieee_overflow 0
		.amdhsa_exception_fp_ieee_underflow 0
		.amdhsa_exception_fp_ieee_inexact 0
		.amdhsa_exception_int_div_zero 0
	.end_amdhsa_kernel
	.section	.text._Z6kernelI14inclusive_scanILN6hipcub18BlockScanAlgorithmE1EEiLj64ELj8ELj100EEvPKT0_PS4_S4_,"axG",@progbits,_Z6kernelI14inclusive_scanILN6hipcub18BlockScanAlgorithmE1EEiLj64ELj8ELj100EEvPKT0_PS4_S4_,comdat
.Lfunc_end3:
	.size	_Z6kernelI14inclusive_scanILN6hipcub18BlockScanAlgorithmE1EEiLj64ELj8ELj100EEvPKT0_PS4_S4_, .Lfunc_end3-_Z6kernelI14inclusive_scanILN6hipcub18BlockScanAlgorithmE1EEiLj64ELj8ELj100EEvPKT0_PS4_S4_
                                        ; -- End function
	.section	.AMDGPU.csdata,"",@progbits
; Kernel info:
; codeLenInByte = 504
; NumSgprs: 25
; NumVgprs: 14
; NumAgprs: 0
; TotalNumVgprs: 14
; ScratchSize: 0
; MemoryBound: 0
; FloatMode: 240
; IeeeMode: 1
; LDSByteSize: 4 bytes/workgroup (compile time only)
; SGPRBlocks: 3
; VGPRBlocks: 1
; NumSGPRsForWavesPerEU: 25
; NumVGPRsForWavesPerEU: 14
; AccumOffset: 16
; Occupancy: 8
; WaveLimiterHint : 0
; COMPUTE_PGM_RSRC2:SCRATCH_EN: 0
; COMPUTE_PGM_RSRC2:USER_SGPR: 2
; COMPUTE_PGM_RSRC2:TRAP_HANDLER: 0
; COMPUTE_PGM_RSRC2:TGID_X_EN: 1
; COMPUTE_PGM_RSRC2:TGID_Y_EN: 0
; COMPUTE_PGM_RSRC2:TGID_Z_EN: 0
; COMPUTE_PGM_RSRC2:TIDIG_COMP_CNT: 0
; COMPUTE_PGM_RSRC3_GFX90A:ACCUM_OFFSET: 3
; COMPUTE_PGM_RSRC3_GFX90A:TG_SPLIT: 0
	.section	.text._Z6kernelI14inclusive_scanILN6hipcub18BlockScanAlgorithmE1EEiLj64ELj11ELj100EEvPKT0_PS4_S4_,"axG",@progbits,_Z6kernelI14inclusive_scanILN6hipcub18BlockScanAlgorithmE1EEiLj64ELj11ELj100EEvPKT0_PS4_S4_,comdat
	.protected	_Z6kernelI14inclusive_scanILN6hipcub18BlockScanAlgorithmE1EEiLj64ELj11ELj100EEvPKT0_PS4_S4_ ; -- Begin function _Z6kernelI14inclusive_scanILN6hipcub18BlockScanAlgorithmE1EEiLj64ELj11ELj100EEvPKT0_PS4_S4_
	.globl	_Z6kernelI14inclusive_scanILN6hipcub18BlockScanAlgorithmE1EEiLj64ELj11ELj100EEvPKT0_PS4_S4_
	.p2align	8
	.type	_Z6kernelI14inclusive_scanILN6hipcub18BlockScanAlgorithmE1EEiLj64ELj11ELj100EEvPKT0_PS4_S4_,@function
_Z6kernelI14inclusive_scanILN6hipcub18BlockScanAlgorithmE1EEiLj64ELj11ELj100EEvPKT0_PS4_S4_: ; @_Z6kernelI14inclusive_scanILN6hipcub18BlockScanAlgorithmE1EEiLj64ELj11ELj100EEvPKT0_PS4_S4_
; %bb.0:
	s_load_dword s3, s[0:1], 0x24
	s_load_dwordx4 s[12:15], s[0:1], 0x0
	v_mov_b32_e32 v3, 0
	v_mov_b32_e32 v5, v3
	;; [unrolled: 1-line block ×3, first 2 shown]
	s_waitcnt lgkmcnt(0)
	s_and_b32 s0, s3, 0xffff
	s_mul_i32 s2, s2, s0
	v_add_u32_e32 v1, s2, v0
	v_mul_lo_u32 v2, v1, 11
	v_lshl_add_u64 v[18:19], v[2:3], 2, s[12:13]
	v_add_u32_e32 v4, 1, v2
	v_add_u32_e32 v6, 2, v2
	;; [unrolled: 1-line block ×3, first 2 shown]
	v_mov_b32_e32 v9, v3
	v_add_u32_e32 v10, 4, v2
	v_mov_b32_e32 v11, v3
	v_add_u32_e32 v12, 5, v2
	;; [unrolled: 2-line block ×4, first 2 shown]
	v_mov_b32_e32 v17, v3
	v_lshl_add_u64 v[20:21], v[4:5], 2, s[12:13]
	v_lshl_add_u64 v[22:23], v[6:7], 2, s[12:13]
	;; [unrolled: 1-line block ×7, first 2 shown]
	global_load_dword v30, v[18:19], off
	global_load_dword v29, v[20:21], off
	;; [unrolled: 1-line block ×8, first 2 shown]
	v_add_u32_e32 v18, 8, v2
	v_mov_b32_e32 v19, v3
	v_lshl_add_u64 v[34:35], v[18:19], 2, s[12:13]
	v_add_u32_e32 v20, 9, v2
	v_mov_b32_e32 v21, v3
	v_add_u32_e32 v22, 10, v2
	v_mov_b32_e32 v23, v3
	v_lshl_add_u64 v[36:37], v[20:21], 2, s[12:13]
	v_lshl_add_u64 v[38:39], v[22:23], 2, s[12:13]
	global_load_dword v33, v[34:35], off
	global_load_dword v32, v[36:37], off
	;; [unrolled: 1-line block ×3, first 2 shown]
	v_mbcnt_lo_u32_b32 v34, -1, 0
	v_mbcnt_hi_u32_b32 v34, -1, v34
	v_and_b32_e32 v35, 15, v34
	v_cmp_eq_u32_e32 vcc, 0, v35
	v_cmp_lt_u32_e64 s[0:1], 1, v35
	v_cmp_lt_u32_e64 s[2:3], 3, v35
	;; [unrolled: 1-line block ×3, first 2 shown]
	v_and_b32_e32 v35, 16, v34
	v_cmp_eq_u32_e64 s[6:7], 0, v35
	v_add_u32_e32 v35, -1, v34
	v_and_b32_e32 v36, 64, v34
	v_cmp_lt_i32_e64 s[12:13], v35, v36
	v_cmp_lt_u32_e64 s[8:9], 31, v34
	v_cmp_eq_u32_e64 s[10:11], 63, v0
	v_cndmask_b32_e64 v34, v35, v34, s[12:13]
	v_lshlrev_b32_e32 v34, 2, v34
	v_cmp_eq_u32_e64 s[12:13], 0, v0
	s_movk_i32 s18, 0x64
	s_branch .LBB4_2
.LBB4_1:                                ;   in Loop: Header=BB4_2 Depth=1
	s_or_b64 exec, exec, s[16:17]
	ds_bpermute_b32 v0, v34, v0
	s_add_i32 s18, s18, -1
	s_cmp_lg_u32 s18, 0
	s_waitcnt lgkmcnt(0)
	; wave barrier
	s_waitcnt lgkmcnt(0)
	v_cndmask_b32_e64 v0, v0, 0, s[12:13]
	v_add_u32_e32 v30, v0, v30
	v_add_u32_e32 v29, v30, v29
	;; [unrolled: 1-line block ×11, first 2 shown]
	s_cbranch_scc0 .LBB4_4
.LBB4_2:                                ; =>This Inner Loop Header: Depth=1
	s_waitcnt vmcnt(0)
	v_add3_u32 v0, v32, v31, v33
	v_add3_u32 v0, v0, v1, v24
	;; [unrolled: 1-line block ×5, first 2 shown]
	s_nop 1
	v_mov_b32_dpp v35, v0 row_shr:1 row_mask:0xf bank_mask:0xf
	v_cndmask_b32_e64 v35, v35, 0, vcc
	v_add_u32_e32 v0, v0, v35
	s_nop 1
	v_mov_b32_dpp v35, v0 row_shr:2 row_mask:0xf bank_mask:0xf
	v_cndmask_b32_e64 v35, 0, v35, s[0:1]
	v_add_u32_e32 v0, v0, v35
	s_nop 1
	v_mov_b32_dpp v35, v0 row_shr:4 row_mask:0xf bank_mask:0xf
	v_cndmask_b32_e64 v35, 0, v35, s[2:3]
	;; [unrolled: 4-line block ×3, first 2 shown]
	v_add_u32_e32 v0, v0, v35
	s_nop 1
	v_mov_b32_dpp v35, v0 row_bcast:15 row_mask:0xf bank_mask:0xf
	v_cndmask_b32_e64 v35, v35, 0, s[6:7]
	v_add_u32_e32 v0, v0, v35
	s_nop 1
	v_mov_b32_dpp v35, v0 row_bcast:31 row_mask:0xf bank_mask:0xf
	v_cndmask_b32_e64 v35, 0, v35, s[8:9]
	v_add_u32_e32 v0, v0, v35
	s_and_saveexec_b64 s[16:17], s[10:11]
	s_cbranch_execz .LBB4_1
; %bb.3:                                ;   in Loop: Header=BB4_2 Depth=1
	ds_write_b32 v3, v0
	s_branch .LBB4_1
.LBB4_4:
	v_lshl_add_u64 v[2:3], v[2:3], 2, s[14:15]
	global_store_dword v[2:3], v30, off
	v_lshl_add_u64 v[2:3], v[4:5], 2, s[14:15]
	global_store_dword v[2:3], v29, off
	;; [unrolled: 2-line block ×11, first 2 shown]
	s_endpgm
	.section	.rodata,"a",@progbits
	.p2align	6, 0x0
	.amdhsa_kernel _Z6kernelI14inclusive_scanILN6hipcub18BlockScanAlgorithmE1EEiLj64ELj11ELj100EEvPKT0_PS4_S4_
		.amdhsa_group_segment_fixed_size 4
		.amdhsa_private_segment_fixed_size 0
		.amdhsa_kernarg_size 280
		.amdhsa_user_sgpr_count 2
		.amdhsa_user_sgpr_dispatch_ptr 0
		.amdhsa_user_sgpr_queue_ptr 0
		.amdhsa_user_sgpr_kernarg_segment_ptr 1
		.amdhsa_user_sgpr_dispatch_id 0
		.amdhsa_user_sgpr_kernarg_preload_length 0
		.amdhsa_user_sgpr_kernarg_preload_offset 0
		.amdhsa_user_sgpr_private_segment_size 0
		.amdhsa_uses_dynamic_stack 0
		.amdhsa_enable_private_segment 0
		.amdhsa_system_sgpr_workgroup_id_x 1
		.amdhsa_system_sgpr_workgroup_id_y 0
		.amdhsa_system_sgpr_workgroup_id_z 0
		.amdhsa_system_sgpr_workgroup_info 0
		.amdhsa_system_vgpr_workitem_id 0
		.amdhsa_next_free_vgpr 42
		.amdhsa_next_free_sgpr 19
		.amdhsa_accum_offset 44
		.amdhsa_reserve_vcc 1
		.amdhsa_float_round_mode_32 0
		.amdhsa_float_round_mode_16_64 0
		.amdhsa_float_denorm_mode_32 3
		.amdhsa_float_denorm_mode_16_64 3
		.amdhsa_dx10_clamp 1
		.amdhsa_ieee_mode 1
		.amdhsa_fp16_overflow 0
		.amdhsa_tg_split 0
		.amdhsa_exception_fp_ieee_invalid_op 0
		.amdhsa_exception_fp_denorm_src 0
		.amdhsa_exception_fp_ieee_div_zero 0
		.amdhsa_exception_fp_ieee_overflow 0
		.amdhsa_exception_fp_ieee_underflow 0
		.amdhsa_exception_fp_ieee_inexact 0
		.amdhsa_exception_int_div_zero 0
	.end_amdhsa_kernel
	.section	.text._Z6kernelI14inclusive_scanILN6hipcub18BlockScanAlgorithmE1EEiLj64ELj11ELj100EEvPKT0_PS4_S4_,"axG",@progbits,_Z6kernelI14inclusive_scanILN6hipcub18BlockScanAlgorithmE1EEiLj64ELj11ELj100EEvPKT0_PS4_S4_,comdat
.Lfunc_end4:
	.size	_Z6kernelI14inclusive_scanILN6hipcub18BlockScanAlgorithmE1EEiLj64ELj11ELj100EEvPKT0_PS4_S4_, .Lfunc_end4-_Z6kernelI14inclusive_scanILN6hipcub18BlockScanAlgorithmE1EEiLj64ELj11ELj100EEvPKT0_PS4_S4_
                                        ; -- End function
	.section	.AMDGPU.csdata,"",@progbits
; Kernel info:
; codeLenInByte = 896
; NumSgprs: 25
; NumVgprs: 42
; NumAgprs: 0
; TotalNumVgprs: 42
; ScratchSize: 0
; MemoryBound: 0
; FloatMode: 240
; IeeeMode: 1
; LDSByteSize: 4 bytes/workgroup (compile time only)
; SGPRBlocks: 3
; VGPRBlocks: 5
; NumSGPRsForWavesPerEU: 25
; NumVGPRsForWavesPerEU: 42
; AccumOffset: 44
; Occupancy: 8
; WaveLimiterHint : 0
; COMPUTE_PGM_RSRC2:SCRATCH_EN: 0
; COMPUTE_PGM_RSRC2:USER_SGPR: 2
; COMPUTE_PGM_RSRC2:TRAP_HANDLER: 0
; COMPUTE_PGM_RSRC2:TGID_X_EN: 1
; COMPUTE_PGM_RSRC2:TGID_Y_EN: 0
; COMPUTE_PGM_RSRC2:TGID_Z_EN: 0
; COMPUTE_PGM_RSRC2:TIDIG_COMP_CNT: 0
; COMPUTE_PGM_RSRC3_GFX90A:ACCUM_OFFSET: 10
; COMPUTE_PGM_RSRC3_GFX90A:TG_SPLIT: 0
	.section	.text._Z6kernelI14inclusive_scanILN6hipcub18BlockScanAlgorithmE1EEiLj64ELj16ELj100EEvPKT0_PS4_S4_,"axG",@progbits,_Z6kernelI14inclusive_scanILN6hipcub18BlockScanAlgorithmE1EEiLj64ELj16ELj100EEvPKT0_PS4_S4_,comdat
	.protected	_Z6kernelI14inclusive_scanILN6hipcub18BlockScanAlgorithmE1EEiLj64ELj16ELj100EEvPKT0_PS4_S4_ ; -- Begin function _Z6kernelI14inclusive_scanILN6hipcub18BlockScanAlgorithmE1EEiLj64ELj16ELj100EEvPKT0_PS4_S4_
	.globl	_Z6kernelI14inclusive_scanILN6hipcub18BlockScanAlgorithmE1EEiLj64ELj16ELj100EEvPKT0_PS4_S4_
	.p2align	8
	.type	_Z6kernelI14inclusive_scanILN6hipcub18BlockScanAlgorithmE1EEiLj64ELj16ELj100EEvPKT0_PS4_S4_,@function
_Z6kernelI14inclusive_scanILN6hipcub18BlockScanAlgorithmE1EEiLj64ELj16ELj100EEvPKT0_PS4_S4_: ; @_Z6kernelI14inclusive_scanILN6hipcub18BlockScanAlgorithmE1EEiLj64ELj16ELj100EEvPKT0_PS4_S4_
; %bb.0:
	s_load_dwordx4 s[12:15], s[0:1], 0x0
	s_load_dword s3, s[0:1], 0x24
	v_mov_b32_e32 v19, 0
	v_mbcnt_lo_u32_b32 v1, -1, 0
	v_mbcnt_hi_u32_b32 v1, -1, v1
	s_waitcnt lgkmcnt(0)
	v_mov_b32_e32 v2, s12
	s_and_b32 s0, s3, 0xffff
	s_mul_i32 s2, s2, s0
	v_mov_b32_e32 v3, s13
	v_add_lshl_u32 v18, s2, v0, 4
	v_lshl_add_u64 v[20:21], v[18:19], 2, v[2:3]
	global_load_dwordx4 v[2:5], v[20:21], off offset:48
	global_load_dwordx4 v[6:9], v[20:21], off offset:32
	global_load_dwordx4 v[10:13], v[20:21], off offset:16
	global_load_dwordx4 v[14:17], v[20:21], off
	v_and_b32_e32 v20, 15, v1
	v_cmp_eq_u32_e32 vcc, 0, v20
	v_cmp_lt_u32_e64 s[0:1], 1, v20
	v_cmp_lt_u32_e64 s[2:3], 3, v20
	;; [unrolled: 1-line block ×3, first 2 shown]
	v_and_b32_e32 v20, 16, v1
	v_cmp_eq_u32_e64 s[6:7], 0, v20
	v_add_u32_e32 v20, -1, v1
	v_and_b32_e32 v21, 64, v1
	v_cmp_lt_i32_e64 s[12:13], v20, v21
	v_cmp_lt_u32_e64 s[8:9], 31, v1
	v_cmp_eq_u32_e64 s[10:11], 63, v0
	v_cndmask_b32_e64 v1, v20, v1, s[12:13]
	v_lshlrev_b32_e32 v1, 2, v1
	v_cmp_eq_u32_e64 s[12:13], 0, v0
	s_movk_i32 s18, 0x64
	s_branch .LBB5_2
.LBB5_1:                                ;   in Loop: Header=BB5_2 Depth=1
	s_or_b64 exec, exec, s[16:17]
	ds_bpermute_b32 v0, v1, v0
	s_add_i32 s18, s18, -1
	s_cmp_lg_u32 s18, 0
	s_waitcnt lgkmcnt(0)
	; wave barrier
	s_waitcnt lgkmcnt(0)
	v_cndmask_b32_e64 v0, v0, 0, s[12:13]
	v_add_u32_e32 v14, v0, v14
	v_add_u32_e32 v15, v14, v15
	;; [unrolled: 1-line block ×16, first 2 shown]
	s_cbranch_scc0 .LBB5_4
.LBB5_2:                                ; =>This Inner Loop Header: Depth=1
	s_waitcnt vmcnt(3)
	v_add_u32_e32 v0, v4, v5
	v_add3_u32 v0, v0, v3, v2
	s_waitcnt vmcnt(2)
	v_add3_u32 v0, v0, v9, v8
	v_add3_u32 v0, v0, v7, v6
	s_waitcnt vmcnt(1)
	v_add3_u32 v0, v0, v13, v12
	;; [unrolled: 3-line block ×3, first 2 shown]
	v_add3_u32 v0, v0, v15, v14
	s_nop 1
	v_mov_b32_dpp v20, v0 row_shr:1 row_mask:0xf bank_mask:0xf
	v_cndmask_b32_e64 v20, v20, 0, vcc
	v_add_u32_e32 v0, v0, v20
	s_nop 1
	v_mov_b32_dpp v20, v0 row_shr:2 row_mask:0xf bank_mask:0xf
	v_cndmask_b32_e64 v20, 0, v20, s[0:1]
	v_add_u32_e32 v0, v0, v20
	s_nop 1
	v_mov_b32_dpp v20, v0 row_shr:4 row_mask:0xf bank_mask:0xf
	v_cndmask_b32_e64 v20, 0, v20, s[2:3]
	;; [unrolled: 4-line block ×3, first 2 shown]
	v_add_u32_e32 v0, v0, v20
	s_nop 1
	v_mov_b32_dpp v20, v0 row_bcast:15 row_mask:0xf bank_mask:0xf
	v_cndmask_b32_e64 v20, v20, 0, s[6:7]
	v_add_u32_e32 v0, v0, v20
	s_nop 1
	v_mov_b32_dpp v20, v0 row_bcast:31 row_mask:0xf bank_mask:0xf
	v_cndmask_b32_e64 v20, 0, v20, s[8:9]
	v_add_u32_e32 v0, v0, v20
	s_and_saveexec_b64 s[16:17], s[10:11]
	s_cbranch_execz .LBB5_1
; %bb.3:                                ;   in Loop: Header=BB5_2 Depth=1
	ds_write_b32 v19, v0
	s_branch .LBB5_1
.LBB5_4:
	v_mov_b32_e32 v0, s14
	v_mov_b32_e32 v1, s15
	v_lshl_add_u64 v[0:1], v[18:19], 2, v[0:1]
	global_store_dwordx4 v[0:1], v[14:17], off
	global_store_dwordx4 v[0:1], v[10:13], off offset:16
	global_store_dwordx4 v[0:1], v[6:9], off offset:32
	;; [unrolled: 1-line block ×3, first 2 shown]
	s_endpgm
	.section	.rodata,"a",@progbits
	.p2align	6, 0x0
	.amdhsa_kernel _Z6kernelI14inclusive_scanILN6hipcub18BlockScanAlgorithmE1EEiLj64ELj16ELj100EEvPKT0_PS4_S4_
		.amdhsa_group_segment_fixed_size 4
		.amdhsa_private_segment_fixed_size 0
		.amdhsa_kernarg_size 280
		.amdhsa_user_sgpr_count 2
		.amdhsa_user_sgpr_dispatch_ptr 0
		.amdhsa_user_sgpr_queue_ptr 0
		.amdhsa_user_sgpr_kernarg_segment_ptr 1
		.amdhsa_user_sgpr_dispatch_id 0
		.amdhsa_user_sgpr_kernarg_preload_length 0
		.amdhsa_user_sgpr_kernarg_preload_offset 0
		.amdhsa_user_sgpr_private_segment_size 0
		.amdhsa_uses_dynamic_stack 0
		.amdhsa_enable_private_segment 0
		.amdhsa_system_sgpr_workgroup_id_x 1
		.amdhsa_system_sgpr_workgroup_id_y 0
		.amdhsa_system_sgpr_workgroup_id_z 0
		.amdhsa_system_sgpr_workgroup_info 0
		.amdhsa_system_vgpr_workitem_id 0
		.amdhsa_next_free_vgpr 22
		.amdhsa_next_free_sgpr 19
		.amdhsa_accum_offset 24
		.amdhsa_reserve_vcc 1
		.amdhsa_float_round_mode_32 0
		.amdhsa_float_round_mode_16_64 0
		.amdhsa_float_denorm_mode_32 3
		.amdhsa_float_denorm_mode_16_64 3
		.amdhsa_dx10_clamp 1
		.amdhsa_ieee_mode 1
		.amdhsa_fp16_overflow 0
		.amdhsa_tg_split 0
		.amdhsa_exception_fp_ieee_invalid_op 0
		.amdhsa_exception_fp_denorm_src 0
		.amdhsa_exception_fp_ieee_div_zero 0
		.amdhsa_exception_fp_ieee_overflow 0
		.amdhsa_exception_fp_ieee_underflow 0
		.amdhsa_exception_fp_ieee_inexact 0
		.amdhsa_exception_int_div_zero 0
	.end_amdhsa_kernel
	.section	.text._Z6kernelI14inclusive_scanILN6hipcub18BlockScanAlgorithmE1EEiLj64ELj16ELj100EEvPKT0_PS4_S4_,"axG",@progbits,_Z6kernelI14inclusive_scanILN6hipcub18BlockScanAlgorithmE1EEiLj64ELj16ELj100EEvPKT0_PS4_S4_,comdat
.Lfunc_end5:
	.size	_Z6kernelI14inclusive_scanILN6hipcub18BlockScanAlgorithmE1EEiLj64ELj16ELj100EEvPKT0_PS4_S4_, .Lfunc_end5-_Z6kernelI14inclusive_scanILN6hipcub18BlockScanAlgorithmE1EEiLj64ELj16ELj100EEvPKT0_PS4_S4_
                                        ; -- End function
	.section	.AMDGPU.csdata,"",@progbits
; Kernel info:
; codeLenInByte = 608
; NumSgprs: 25
; NumVgprs: 22
; NumAgprs: 0
; TotalNumVgprs: 22
; ScratchSize: 0
; MemoryBound: 0
; FloatMode: 240
; IeeeMode: 1
; LDSByteSize: 4 bytes/workgroup (compile time only)
; SGPRBlocks: 3
; VGPRBlocks: 2
; NumSGPRsForWavesPerEU: 25
; NumVGPRsForWavesPerEU: 22
; AccumOffset: 24
; Occupancy: 8
; WaveLimiterHint : 0
; COMPUTE_PGM_RSRC2:SCRATCH_EN: 0
; COMPUTE_PGM_RSRC2:USER_SGPR: 2
; COMPUTE_PGM_RSRC2:TRAP_HANDLER: 0
; COMPUTE_PGM_RSRC2:TGID_X_EN: 1
; COMPUTE_PGM_RSRC2:TGID_Y_EN: 0
; COMPUTE_PGM_RSRC2:TGID_Z_EN: 0
; COMPUTE_PGM_RSRC2:TIDIG_COMP_CNT: 0
; COMPUTE_PGM_RSRC3_GFX90A:ACCUM_OFFSET: 5
; COMPUTE_PGM_RSRC3_GFX90A:TG_SPLIT: 0
	.section	.text._Z6kernelI14inclusive_scanILN6hipcub18BlockScanAlgorithmE1EEfLj64ELj1ELj100EEvPKT0_PS4_S4_,"axG",@progbits,_Z6kernelI14inclusive_scanILN6hipcub18BlockScanAlgorithmE1EEfLj64ELj1ELj100EEvPKT0_PS4_S4_,comdat
	.protected	_Z6kernelI14inclusive_scanILN6hipcub18BlockScanAlgorithmE1EEfLj64ELj1ELj100EEvPKT0_PS4_S4_ ; -- Begin function _Z6kernelI14inclusive_scanILN6hipcub18BlockScanAlgorithmE1EEfLj64ELj1ELj100EEvPKT0_PS4_S4_
	.globl	_Z6kernelI14inclusive_scanILN6hipcub18BlockScanAlgorithmE1EEfLj64ELj1ELj100EEvPKT0_PS4_S4_
	.p2align	8
	.type	_Z6kernelI14inclusive_scanILN6hipcub18BlockScanAlgorithmE1EEfLj64ELj1ELj100EEvPKT0_PS4_S4_,@function
_Z6kernelI14inclusive_scanILN6hipcub18BlockScanAlgorithmE1EEfLj64ELj1ELj100EEvPKT0_PS4_S4_: ; @_Z6kernelI14inclusive_scanILN6hipcub18BlockScanAlgorithmE1EEfLj64ELj1ELj100EEvPKT0_PS4_S4_
; %bb.0:
	s_load_dwordx4 s[12:15], s[0:1], 0x0
	s_load_dword s3, s[0:1], 0x24
	v_mov_b32_e32 v3, 0
	v_cmp_eq_u32_e64 s[10:11], 63, v0
	s_movk_i32 s16, 0x64
	s_waitcnt lgkmcnt(0)
	v_mov_b32_e32 v4, s12
	s_and_b32 s0, s3, 0xffff
	s_mul_i32 s2, s2, s0
	v_mov_b32_e32 v5, s13
	v_add_u32_e32 v2, s2, v0
	v_lshl_add_u64 v[4:5], v[2:3], 2, v[4:5]
	global_load_dword v1, v[4:5], off
	v_mbcnt_lo_u32_b32 v4, -1, 0
	v_mbcnt_hi_u32_b32 v4, -1, v4
	v_and_b32_e32 v5, 15, v4
	v_cmp_eq_u32_e32 vcc, 0, v5
	v_cmp_lt_u32_e64 s[0:1], 1, v5
	v_cmp_lt_u32_e64 s[2:3], 3, v5
	v_cmp_lt_u32_e64 s[4:5], 7, v5
	v_and_b32_e32 v5, 16, v4
	v_cmp_eq_u32_e64 s[6:7], 0, v5
	v_cmp_lt_u32_e64 s[8:9], 31, v4
	s_branch .LBB6_2
.LBB6_1:                                ;   in Loop: Header=BB6_2 Depth=1
	s_or_b64 exec, exec, s[12:13]
	s_add_i32 s16, s16, -1
	s_cmp_lg_u32 s16, 0
	s_waitcnt lgkmcnt(0)
	; wave barrier
	s_waitcnt lgkmcnt(0)
	s_cbranch_scc0 .LBB6_4
.LBB6_2:                                ; =>This Inner Loop Header: Depth=1
	s_waitcnt vmcnt(0)
	v_mov_b32_dpp v0, v1 row_shr:1 row_mask:0xf bank_mask:0xf
	v_add_f32_e32 v0, v1, v0
	v_cndmask_b32_e32 v0, v0, v1, vcc
	s_nop 1
	v_mov_b32_dpp v1, v0 row_shr:2 row_mask:0xf bank_mask:0xf
	v_add_f32_e32 v1, v0, v1
	v_cndmask_b32_e64 v0, v0, v1, s[0:1]
	s_nop 1
	v_mov_b32_dpp v1, v0 row_shr:4 row_mask:0xf bank_mask:0xf
	v_add_f32_e32 v1, v0, v1
	v_cndmask_b32_e64 v0, v0, v1, s[2:3]
	;; [unrolled: 4-line block ×3, first 2 shown]
	s_nop 1
	v_mov_b32_dpp v1, v0 row_bcast:15 row_mask:0xf bank_mask:0xf
	v_add_f32_e32 v1, v0, v1
	v_cndmask_b32_e64 v0, v1, v0, s[6:7]
	s_nop 1
	v_mov_b32_dpp v1, v0 row_bcast:31 row_mask:0xf bank_mask:0xf
	v_add_f32_e32 v1, v0, v1
	v_cndmask_b32_e64 v1, v0, v1, s[8:9]
	s_and_saveexec_b64 s[12:13], s[10:11]
	s_cbranch_execz .LBB6_1
; %bb.3:                                ;   in Loop: Header=BB6_2 Depth=1
	ds_write_b32 v3, v1
	s_branch .LBB6_1
.LBB6_4:
	v_mov_b32_e32 v4, s14
	v_mov_b32_e32 v5, s15
	v_lshl_add_u64 v[2:3], v[2:3], 2, v[4:5]
	global_store_dword v[2:3], v1, off
	s_endpgm
	.section	.rodata,"a",@progbits
	.p2align	6, 0x0
	.amdhsa_kernel _Z6kernelI14inclusive_scanILN6hipcub18BlockScanAlgorithmE1EEfLj64ELj1ELj100EEvPKT0_PS4_S4_
		.amdhsa_group_segment_fixed_size 4
		.amdhsa_private_segment_fixed_size 0
		.amdhsa_kernarg_size 280
		.amdhsa_user_sgpr_count 2
		.amdhsa_user_sgpr_dispatch_ptr 0
		.amdhsa_user_sgpr_queue_ptr 0
		.amdhsa_user_sgpr_kernarg_segment_ptr 1
		.amdhsa_user_sgpr_dispatch_id 0
		.amdhsa_user_sgpr_kernarg_preload_length 0
		.amdhsa_user_sgpr_kernarg_preload_offset 0
		.amdhsa_user_sgpr_private_segment_size 0
		.amdhsa_uses_dynamic_stack 0
		.amdhsa_enable_private_segment 0
		.amdhsa_system_sgpr_workgroup_id_x 1
		.amdhsa_system_sgpr_workgroup_id_y 0
		.amdhsa_system_sgpr_workgroup_id_z 0
		.amdhsa_system_sgpr_workgroup_info 0
		.amdhsa_system_vgpr_workitem_id 0
		.amdhsa_next_free_vgpr 6
		.amdhsa_next_free_sgpr 17
		.amdhsa_accum_offset 8
		.amdhsa_reserve_vcc 1
		.amdhsa_float_round_mode_32 0
		.amdhsa_float_round_mode_16_64 0
		.amdhsa_float_denorm_mode_32 3
		.amdhsa_float_denorm_mode_16_64 3
		.amdhsa_dx10_clamp 1
		.amdhsa_ieee_mode 1
		.amdhsa_fp16_overflow 0
		.amdhsa_tg_split 0
		.amdhsa_exception_fp_ieee_invalid_op 0
		.amdhsa_exception_fp_denorm_src 0
		.amdhsa_exception_fp_ieee_div_zero 0
		.amdhsa_exception_fp_ieee_overflow 0
		.amdhsa_exception_fp_ieee_underflow 0
		.amdhsa_exception_fp_ieee_inexact 0
		.amdhsa_exception_int_div_zero 0
	.end_amdhsa_kernel
	.section	.text._Z6kernelI14inclusive_scanILN6hipcub18BlockScanAlgorithmE1EEfLj64ELj1ELj100EEvPKT0_PS4_S4_,"axG",@progbits,_Z6kernelI14inclusive_scanILN6hipcub18BlockScanAlgorithmE1EEfLj64ELj1ELj100EEvPKT0_PS4_S4_,comdat
.Lfunc_end6:
	.size	_Z6kernelI14inclusive_scanILN6hipcub18BlockScanAlgorithmE1EEfLj64ELj1ELj100EEvPKT0_PS4_S4_, .Lfunc_end6-_Z6kernelI14inclusive_scanILN6hipcub18BlockScanAlgorithmE1EEfLj64ELj1ELj100EEvPKT0_PS4_S4_
                                        ; -- End function
	.section	.AMDGPU.csdata,"",@progbits
; Kernel info:
; codeLenInByte = 360
; NumSgprs: 23
; NumVgprs: 6
; NumAgprs: 0
; TotalNumVgprs: 6
; ScratchSize: 0
; MemoryBound: 0
; FloatMode: 240
; IeeeMode: 1
; LDSByteSize: 4 bytes/workgroup (compile time only)
; SGPRBlocks: 2
; VGPRBlocks: 0
; NumSGPRsForWavesPerEU: 23
; NumVGPRsForWavesPerEU: 6
; AccumOffset: 8
; Occupancy: 8
; WaveLimiterHint : 0
; COMPUTE_PGM_RSRC2:SCRATCH_EN: 0
; COMPUTE_PGM_RSRC2:USER_SGPR: 2
; COMPUTE_PGM_RSRC2:TRAP_HANDLER: 0
; COMPUTE_PGM_RSRC2:TGID_X_EN: 1
; COMPUTE_PGM_RSRC2:TGID_Y_EN: 0
; COMPUTE_PGM_RSRC2:TGID_Z_EN: 0
; COMPUTE_PGM_RSRC2:TIDIG_COMP_CNT: 0
; COMPUTE_PGM_RSRC3_GFX90A:ACCUM_OFFSET: 1
; COMPUTE_PGM_RSRC3_GFX90A:TG_SPLIT: 0
	.section	.text._Z6kernelI14inclusive_scanILN6hipcub18BlockScanAlgorithmE1EEfLj64ELj3ELj100EEvPKT0_PS4_S4_,"axG",@progbits,_Z6kernelI14inclusive_scanILN6hipcub18BlockScanAlgorithmE1EEfLj64ELj3ELj100EEvPKT0_PS4_S4_,comdat
	.protected	_Z6kernelI14inclusive_scanILN6hipcub18BlockScanAlgorithmE1EEfLj64ELj3ELj100EEvPKT0_PS4_S4_ ; -- Begin function _Z6kernelI14inclusive_scanILN6hipcub18BlockScanAlgorithmE1EEfLj64ELj3ELj100EEvPKT0_PS4_S4_
	.globl	_Z6kernelI14inclusive_scanILN6hipcub18BlockScanAlgorithmE1EEfLj64ELj3ELj100EEvPKT0_PS4_S4_
	.p2align	8
	.type	_Z6kernelI14inclusive_scanILN6hipcub18BlockScanAlgorithmE1EEfLj64ELj3ELj100EEvPKT0_PS4_S4_,@function
_Z6kernelI14inclusive_scanILN6hipcub18BlockScanAlgorithmE1EEfLj64ELj3ELj100EEvPKT0_PS4_S4_: ; @_Z6kernelI14inclusive_scanILN6hipcub18BlockScanAlgorithmE1EEfLj64ELj3ELj100EEvPKT0_PS4_S4_
; %bb.0:
	s_load_dword s3, s[0:1], 0x24
	s_load_dwordx4 s[12:15], s[0:1], 0x0
	v_mov_b32_e32 v3, 0
	v_mov_b32_e32 v5, v3
	;; [unrolled: 1-line block ×3, first 2 shown]
	s_waitcnt lgkmcnt(0)
	s_and_b32 s0, s3, 0xffff
	s_mul_i32 s2, s2, s0
	v_add_u32_e32 v1, s2, v0
	v_lshl_add_u32 v2, v1, 1, v1
	v_lshl_add_u64 v[10:11], v[2:3], 2, s[12:13]
	v_add_u32_e32 v4, 1, v2
	v_add_u32_e32 v6, 2, v2
	v_lshl_add_u64 v[12:13], v[4:5], 2, s[12:13]
	v_lshl_add_u64 v[14:15], v[6:7], 2, s[12:13]
	global_load_dword v9, v[10:11], off
	global_load_dword v8, v[12:13], off
	;; [unrolled: 1-line block ×3, first 2 shown]
	v_mbcnt_lo_u32_b32 v10, -1, 0
	v_mbcnt_hi_u32_b32 v10, -1, v10
	v_and_b32_e32 v11, 15, v10
	v_cmp_eq_u32_e32 vcc, 0, v11
	v_cmp_lt_u32_e64 s[0:1], 1, v11
	v_cmp_lt_u32_e64 s[2:3], 3, v11
	;; [unrolled: 1-line block ×3, first 2 shown]
	v_and_b32_e32 v11, 16, v10
	v_cmp_eq_u32_e64 s[6:7], 0, v11
	v_add_u32_e32 v11, -1, v10
	v_and_b32_e32 v12, 64, v10
	v_cmp_lt_i32_e64 s[12:13], v11, v12
	v_cmp_lt_u32_e64 s[8:9], 31, v10
	v_cmp_eq_u32_e64 s[10:11], 63, v0
	v_cndmask_b32_e64 v10, v11, v10, s[12:13]
	v_lshlrev_b32_e32 v10, 2, v10
	v_cmp_eq_u32_e64 s[12:13], 0, v0
	s_movk_i32 s18, 0x64
	s_branch .LBB7_2
.LBB7_1:                                ;   in Loop: Header=BB7_2 Depth=1
	s_or_b64 exec, exec, s[16:17]
	ds_bpermute_b32 v0, v10, v0
	s_add_i32 s18, s18, -1
	s_cmp_lg_u32 s18, 0
	s_waitcnt lgkmcnt(0)
	; wave barrier
	s_waitcnt lgkmcnt(0)
	v_add_f32_e32 v0, v9, v0
	v_cndmask_b32_e64 v9, v0, v9, s[12:13]
	v_add_f32_e32 v8, v8, v9
	v_add_f32_e32 v1, v1, v8
	s_cbranch_scc0 .LBB7_4
.LBB7_2:                                ; =>This Inner Loop Header: Depth=1
	s_waitcnt vmcnt(1)
	v_add_f32_e32 v0, v9, v8
	s_waitcnt vmcnt(0)
	v_add_f32_e32 v0, v1, v0
	s_nop 1
	v_mov_b32_dpp v11, v0 row_shr:1 row_mask:0xf bank_mask:0xf
	v_add_f32_e32 v11, v0, v11
	v_cndmask_b32_e32 v0, v11, v0, vcc
	s_nop 1
	v_mov_b32_dpp v11, v0 row_shr:2 row_mask:0xf bank_mask:0xf
	v_add_f32_e32 v11, v0, v11
	v_cndmask_b32_e64 v0, v0, v11, s[0:1]
	s_nop 1
	v_mov_b32_dpp v11, v0 row_shr:4 row_mask:0xf bank_mask:0xf
	v_add_f32_e32 v11, v0, v11
	v_cndmask_b32_e64 v0, v0, v11, s[2:3]
	;; [unrolled: 4-line block ×3, first 2 shown]
	s_nop 1
	v_mov_b32_dpp v11, v0 row_bcast:15 row_mask:0xf bank_mask:0xf
	v_add_f32_e32 v11, v0, v11
	v_cndmask_b32_e64 v0, v11, v0, s[6:7]
	s_nop 1
	v_mov_b32_dpp v11, v0 row_bcast:31 row_mask:0xf bank_mask:0xf
	v_add_f32_e32 v11, v0, v11
	v_cndmask_b32_e64 v0, v0, v11, s[8:9]
	s_and_saveexec_b64 s[16:17], s[10:11]
	s_cbranch_execz .LBB7_1
; %bb.3:                                ;   in Loop: Header=BB7_2 Depth=1
	ds_write_b32 v3, v0
	s_branch .LBB7_1
.LBB7_4:
	v_lshl_add_u64 v[2:3], v[2:3], 2, s[14:15]
	global_store_dword v[2:3], v9, off
	v_lshl_add_u64 v[2:3], v[4:5], 2, s[14:15]
	global_store_dword v[2:3], v8, off
	;; [unrolled: 2-line block ×3, first 2 shown]
	s_endpgm
	.section	.rodata,"a",@progbits
	.p2align	6, 0x0
	.amdhsa_kernel _Z6kernelI14inclusive_scanILN6hipcub18BlockScanAlgorithmE1EEfLj64ELj3ELj100EEvPKT0_PS4_S4_
		.amdhsa_group_segment_fixed_size 4
		.amdhsa_private_segment_fixed_size 0
		.amdhsa_kernarg_size 280
		.amdhsa_user_sgpr_count 2
		.amdhsa_user_sgpr_dispatch_ptr 0
		.amdhsa_user_sgpr_queue_ptr 0
		.amdhsa_user_sgpr_kernarg_segment_ptr 1
		.amdhsa_user_sgpr_dispatch_id 0
		.amdhsa_user_sgpr_kernarg_preload_length 0
		.amdhsa_user_sgpr_kernarg_preload_offset 0
		.amdhsa_user_sgpr_private_segment_size 0
		.amdhsa_uses_dynamic_stack 0
		.amdhsa_enable_private_segment 0
		.amdhsa_system_sgpr_workgroup_id_x 1
		.amdhsa_system_sgpr_workgroup_id_y 0
		.amdhsa_system_sgpr_workgroup_id_z 0
		.amdhsa_system_sgpr_workgroup_info 0
		.amdhsa_system_vgpr_workitem_id 0
		.amdhsa_next_free_vgpr 16
		.amdhsa_next_free_sgpr 19
		.amdhsa_accum_offset 16
		.amdhsa_reserve_vcc 1
		.amdhsa_float_round_mode_32 0
		.amdhsa_float_round_mode_16_64 0
		.amdhsa_float_denorm_mode_32 3
		.amdhsa_float_denorm_mode_16_64 3
		.amdhsa_dx10_clamp 1
		.amdhsa_ieee_mode 1
		.amdhsa_fp16_overflow 0
		.amdhsa_tg_split 0
		.amdhsa_exception_fp_ieee_invalid_op 0
		.amdhsa_exception_fp_denorm_src 0
		.amdhsa_exception_fp_ieee_div_zero 0
		.amdhsa_exception_fp_ieee_overflow 0
		.amdhsa_exception_fp_ieee_underflow 0
		.amdhsa_exception_fp_ieee_inexact 0
		.amdhsa_exception_int_div_zero 0
	.end_amdhsa_kernel
	.section	.text._Z6kernelI14inclusive_scanILN6hipcub18BlockScanAlgorithmE1EEfLj64ELj3ELj100EEvPKT0_PS4_S4_,"axG",@progbits,_Z6kernelI14inclusive_scanILN6hipcub18BlockScanAlgorithmE1EEfLj64ELj3ELj100EEvPKT0_PS4_S4_,comdat
.Lfunc_end7:
	.size	_Z6kernelI14inclusive_scanILN6hipcub18BlockScanAlgorithmE1EEfLj64ELj3ELj100EEvPKT0_PS4_S4_, .Lfunc_end7-_Z6kernelI14inclusive_scanILN6hipcub18BlockScanAlgorithmE1EEfLj64ELj3ELj100EEvPKT0_PS4_S4_
                                        ; -- End function
	.section	.AMDGPU.csdata,"",@progbits
; Kernel info:
; codeLenInByte = 512
; NumSgprs: 25
; NumVgprs: 16
; NumAgprs: 0
; TotalNumVgprs: 16
; ScratchSize: 0
; MemoryBound: 0
; FloatMode: 240
; IeeeMode: 1
; LDSByteSize: 4 bytes/workgroup (compile time only)
; SGPRBlocks: 3
; VGPRBlocks: 1
; NumSGPRsForWavesPerEU: 25
; NumVGPRsForWavesPerEU: 16
; AccumOffset: 16
; Occupancy: 8
; WaveLimiterHint : 0
; COMPUTE_PGM_RSRC2:SCRATCH_EN: 0
; COMPUTE_PGM_RSRC2:USER_SGPR: 2
; COMPUTE_PGM_RSRC2:TRAP_HANDLER: 0
; COMPUTE_PGM_RSRC2:TGID_X_EN: 1
; COMPUTE_PGM_RSRC2:TGID_Y_EN: 0
; COMPUTE_PGM_RSRC2:TGID_Z_EN: 0
; COMPUTE_PGM_RSRC2:TIDIG_COMP_CNT: 0
; COMPUTE_PGM_RSRC3_GFX90A:ACCUM_OFFSET: 3
; COMPUTE_PGM_RSRC3_GFX90A:TG_SPLIT: 0
	.section	.text._Z6kernelI14inclusive_scanILN6hipcub18BlockScanAlgorithmE1EEfLj64ELj4ELj100EEvPKT0_PS4_S4_,"axG",@progbits,_Z6kernelI14inclusive_scanILN6hipcub18BlockScanAlgorithmE1EEfLj64ELj4ELj100EEvPKT0_PS4_S4_,comdat
	.protected	_Z6kernelI14inclusive_scanILN6hipcub18BlockScanAlgorithmE1EEfLj64ELj4ELj100EEvPKT0_PS4_S4_ ; -- Begin function _Z6kernelI14inclusive_scanILN6hipcub18BlockScanAlgorithmE1EEfLj64ELj4ELj100EEvPKT0_PS4_S4_
	.globl	_Z6kernelI14inclusive_scanILN6hipcub18BlockScanAlgorithmE1EEfLj64ELj4ELj100EEvPKT0_PS4_S4_
	.p2align	8
	.type	_Z6kernelI14inclusive_scanILN6hipcub18BlockScanAlgorithmE1EEfLj64ELj4ELj100EEvPKT0_PS4_S4_,@function
_Z6kernelI14inclusive_scanILN6hipcub18BlockScanAlgorithmE1EEfLj64ELj4ELj100EEvPKT0_PS4_S4_: ; @_Z6kernelI14inclusive_scanILN6hipcub18BlockScanAlgorithmE1EEfLj64ELj4ELj100EEvPKT0_PS4_S4_
; %bb.0:
	s_load_dwordx4 s[12:15], s[0:1], 0x0
	s_load_dword s3, s[0:1], 0x24
	v_mov_b32_e32 v7, 0
	v_mbcnt_lo_u32_b32 v1, -1, 0
	v_mbcnt_hi_u32_b32 v1, -1, v1
	s_waitcnt lgkmcnt(0)
	v_mov_b32_e32 v2, s12
	s_and_b32 s0, s3, 0xffff
	s_mul_i32 s2, s2, s0
	v_mov_b32_e32 v3, s13
	v_add_lshl_u32 v6, s2, v0, 2
	v_lshl_add_u64 v[2:3], v[6:7], 2, v[2:3]
	global_load_dwordx4 v[2:5], v[2:3], off
	v_and_b32_e32 v8, 15, v1
	v_cmp_eq_u32_e32 vcc, 0, v8
	v_cmp_lt_u32_e64 s[0:1], 1, v8
	v_cmp_lt_u32_e64 s[2:3], 3, v8
	v_cmp_lt_u32_e64 s[4:5], 7, v8
	v_and_b32_e32 v8, 16, v1
	v_cmp_eq_u32_e64 s[6:7], 0, v8
	v_add_u32_e32 v8, -1, v1
	v_and_b32_e32 v9, 64, v1
	v_cmp_lt_i32_e64 s[12:13], v8, v9
	v_cmp_lt_u32_e64 s[8:9], 31, v1
	v_cmp_eq_u32_e64 s[10:11], 63, v0
	v_cndmask_b32_e64 v1, v8, v1, s[12:13]
	v_lshlrev_b32_e32 v1, 2, v1
	v_cmp_eq_u32_e64 s[12:13], 0, v0
	s_movk_i32 s18, 0x64
	s_branch .LBB8_2
.LBB8_1:                                ;   in Loop: Header=BB8_2 Depth=1
	s_or_b64 exec, exec, s[16:17]
	ds_bpermute_b32 v0, v1, v0
	s_add_i32 s18, s18, -1
	s_cmp_lg_u32 s18, 0
	s_waitcnt lgkmcnt(0)
	; wave barrier
	s_waitcnt lgkmcnt(0)
	v_add_f32_e32 v0, v2, v0
	v_cndmask_b32_e64 v2, v0, v2, s[12:13]
	v_add_f32_e32 v3, v3, v2
	v_add_f32_e32 v4, v4, v3
	;; [unrolled: 1-line block ×3, first 2 shown]
	s_cbranch_scc0 .LBB8_4
.LBB8_2:                                ; =>This Inner Loop Header: Depth=1
	s_waitcnt vmcnt(0)
	v_add_f32_e32 v0, v2, v3
	v_add_f32_e32 v0, v4, v0
	;; [unrolled: 1-line block ×3, first 2 shown]
	s_nop 1
	v_mov_b32_dpp v8, v0 row_shr:1 row_mask:0xf bank_mask:0xf
	v_add_f32_e32 v8, v0, v8
	v_cndmask_b32_e32 v0, v8, v0, vcc
	s_nop 1
	v_mov_b32_dpp v8, v0 row_shr:2 row_mask:0xf bank_mask:0xf
	v_add_f32_e32 v8, v0, v8
	v_cndmask_b32_e64 v0, v0, v8, s[0:1]
	s_nop 1
	v_mov_b32_dpp v8, v0 row_shr:4 row_mask:0xf bank_mask:0xf
	v_add_f32_e32 v8, v0, v8
	v_cndmask_b32_e64 v0, v0, v8, s[2:3]
	;; [unrolled: 4-line block ×3, first 2 shown]
	s_nop 1
	v_mov_b32_dpp v8, v0 row_bcast:15 row_mask:0xf bank_mask:0xf
	v_add_f32_e32 v8, v0, v8
	v_cndmask_b32_e64 v0, v8, v0, s[6:7]
	s_nop 1
	v_mov_b32_dpp v8, v0 row_bcast:31 row_mask:0xf bank_mask:0xf
	v_add_f32_e32 v8, v0, v8
	v_cndmask_b32_e64 v0, v0, v8, s[8:9]
	s_and_saveexec_b64 s[16:17], s[10:11]
	s_cbranch_execz .LBB8_1
; %bb.3:                                ;   in Loop: Header=BB8_2 Depth=1
	ds_write_b32 v7, v0
	s_branch .LBB8_1
.LBB8_4:
	v_mov_b32_e32 v0, s14
	v_mov_b32_e32 v1, s15
	v_lshl_add_u64 v[0:1], v[6:7], 2, v[0:1]
	global_store_dwordx4 v[0:1], v[2:5], off
	s_endpgm
	.section	.rodata,"a",@progbits
	.p2align	6, 0x0
	.amdhsa_kernel _Z6kernelI14inclusive_scanILN6hipcub18BlockScanAlgorithmE1EEfLj64ELj4ELj100EEvPKT0_PS4_S4_
		.amdhsa_group_segment_fixed_size 4
		.amdhsa_private_segment_fixed_size 0
		.amdhsa_kernarg_size 280
		.amdhsa_user_sgpr_count 2
		.amdhsa_user_sgpr_dispatch_ptr 0
		.amdhsa_user_sgpr_queue_ptr 0
		.amdhsa_user_sgpr_kernarg_segment_ptr 1
		.amdhsa_user_sgpr_dispatch_id 0
		.amdhsa_user_sgpr_kernarg_preload_length 0
		.amdhsa_user_sgpr_kernarg_preload_offset 0
		.amdhsa_user_sgpr_private_segment_size 0
		.amdhsa_uses_dynamic_stack 0
		.amdhsa_enable_private_segment 0
		.amdhsa_system_sgpr_workgroup_id_x 1
		.amdhsa_system_sgpr_workgroup_id_y 0
		.amdhsa_system_sgpr_workgroup_id_z 0
		.amdhsa_system_sgpr_workgroup_info 0
		.amdhsa_system_vgpr_workitem_id 0
		.amdhsa_next_free_vgpr 10
		.amdhsa_next_free_sgpr 19
		.amdhsa_accum_offset 12
		.amdhsa_reserve_vcc 1
		.amdhsa_float_round_mode_32 0
		.amdhsa_float_round_mode_16_64 0
		.amdhsa_float_denorm_mode_32 3
		.amdhsa_float_denorm_mode_16_64 3
		.amdhsa_dx10_clamp 1
		.amdhsa_ieee_mode 1
		.amdhsa_fp16_overflow 0
		.amdhsa_tg_split 0
		.amdhsa_exception_fp_ieee_invalid_op 0
		.amdhsa_exception_fp_denorm_src 0
		.amdhsa_exception_fp_ieee_div_zero 0
		.amdhsa_exception_fp_ieee_overflow 0
		.amdhsa_exception_fp_ieee_underflow 0
		.amdhsa_exception_fp_ieee_inexact 0
		.amdhsa_exception_int_div_zero 0
	.end_amdhsa_kernel
	.section	.text._Z6kernelI14inclusive_scanILN6hipcub18BlockScanAlgorithmE1EEfLj64ELj4ELj100EEvPKT0_PS4_S4_,"axG",@progbits,_Z6kernelI14inclusive_scanILN6hipcub18BlockScanAlgorithmE1EEfLj64ELj4ELj100EEvPKT0_PS4_S4_,comdat
.Lfunc_end8:
	.size	_Z6kernelI14inclusive_scanILN6hipcub18BlockScanAlgorithmE1EEfLj64ELj4ELj100EEvPKT0_PS4_S4_, .Lfunc_end8-_Z6kernelI14inclusive_scanILN6hipcub18BlockScanAlgorithmE1EEfLj64ELj4ELj100EEvPKT0_PS4_S4_
                                        ; -- End function
	.section	.AMDGPU.csdata,"",@progbits
; Kernel info:
; codeLenInByte = 448
; NumSgprs: 25
; NumVgprs: 10
; NumAgprs: 0
; TotalNumVgprs: 10
; ScratchSize: 0
; MemoryBound: 0
; FloatMode: 240
; IeeeMode: 1
; LDSByteSize: 4 bytes/workgroup (compile time only)
; SGPRBlocks: 3
; VGPRBlocks: 1
; NumSGPRsForWavesPerEU: 25
; NumVGPRsForWavesPerEU: 10
; AccumOffset: 12
; Occupancy: 8
; WaveLimiterHint : 0
; COMPUTE_PGM_RSRC2:SCRATCH_EN: 0
; COMPUTE_PGM_RSRC2:USER_SGPR: 2
; COMPUTE_PGM_RSRC2:TRAP_HANDLER: 0
; COMPUTE_PGM_RSRC2:TGID_X_EN: 1
; COMPUTE_PGM_RSRC2:TGID_Y_EN: 0
; COMPUTE_PGM_RSRC2:TGID_Z_EN: 0
; COMPUTE_PGM_RSRC2:TIDIG_COMP_CNT: 0
; COMPUTE_PGM_RSRC3_GFX90A:ACCUM_OFFSET: 2
; COMPUTE_PGM_RSRC3_GFX90A:TG_SPLIT: 0
	.section	.text._Z6kernelI14inclusive_scanILN6hipcub18BlockScanAlgorithmE1EEfLj64ELj8ELj100EEvPKT0_PS4_S4_,"axG",@progbits,_Z6kernelI14inclusive_scanILN6hipcub18BlockScanAlgorithmE1EEfLj64ELj8ELj100EEvPKT0_PS4_S4_,comdat
	.protected	_Z6kernelI14inclusive_scanILN6hipcub18BlockScanAlgorithmE1EEfLj64ELj8ELj100EEvPKT0_PS4_S4_ ; -- Begin function _Z6kernelI14inclusive_scanILN6hipcub18BlockScanAlgorithmE1EEfLj64ELj8ELj100EEvPKT0_PS4_S4_
	.globl	_Z6kernelI14inclusive_scanILN6hipcub18BlockScanAlgorithmE1EEfLj64ELj8ELj100EEvPKT0_PS4_S4_
	.p2align	8
	.type	_Z6kernelI14inclusive_scanILN6hipcub18BlockScanAlgorithmE1EEfLj64ELj8ELj100EEvPKT0_PS4_S4_,@function
_Z6kernelI14inclusive_scanILN6hipcub18BlockScanAlgorithmE1EEfLj64ELj8ELj100EEvPKT0_PS4_S4_: ; @_Z6kernelI14inclusive_scanILN6hipcub18BlockScanAlgorithmE1EEfLj64ELj8ELj100EEvPKT0_PS4_S4_
; %bb.0:
	s_load_dwordx4 s[12:15], s[0:1], 0x0
	s_load_dword s3, s[0:1], 0x24
	v_mov_b32_e32 v11, 0
	v_mbcnt_lo_u32_b32 v1, -1, 0
	v_mbcnt_hi_u32_b32 v1, -1, v1
	s_waitcnt lgkmcnt(0)
	v_mov_b32_e32 v2, s12
	s_and_b32 s0, s3, 0xffff
	s_mul_i32 s2, s2, s0
	v_mov_b32_e32 v3, s13
	v_add_lshl_u32 v10, s2, v0, 3
	v_lshl_add_u64 v[12:13], v[10:11], 2, v[2:3]
	global_load_dwordx4 v[2:5], v[12:13], off
	global_load_dwordx4 v[6:9], v[12:13], off offset:16
	v_and_b32_e32 v12, 15, v1
	v_cmp_eq_u32_e32 vcc, 0, v12
	v_cmp_lt_u32_e64 s[0:1], 1, v12
	v_cmp_lt_u32_e64 s[2:3], 3, v12
	;; [unrolled: 1-line block ×3, first 2 shown]
	v_and_b32_e32 v12, 16, v1
	v_cmp_eq_u32_e64 s[6:7], 0, v12
	v_add_u32_e32 v12, -1, v1
	v_and_b32_e32 v13, 64, v1
	v_cmp_lt_i32_e64 s[12:13], v12, v13
	v_cmp_lt_u32_e64 s[8:9], 31, v1
	v_cmp_eq_u32_e64 s[10:11], 63, v0
	v_cndmask_b32_e64 v1, v12, v1, s[12:13]
	v_lshlrev_b32_e32 v1, 2, v1
	v_cmp_eq_u32_e64 s[12:13], 0, v0
	s_movk_i32 s18, 0x64
	s_branch .LBB9_2
.LBB9_1:                                ;   in Loop: Header=BB9_2 Depth=1
	s_or_b64 exec, exec, s[16:17]
	ds_bpermute_b32 v0, v1, v0
	s_add_i32 s18, s18, -1
	s_cmp_lg_u32 s18, 0
	s_waitcnt lgkmcnt(0)
	; wave barrier
	s_waitcnt lgkmcnt(0)
	v_add_f32_e32 v0, v2, v0
	v_cndmask_b32_e64 v2, v0, v2, s[12:13]
	v_add_f32_e32 v3, v3, v2
	v_add_f32_e32 v4, v4, v3
	;; [unrolled: 1-line block ×7, first 2 shown]
	s_cbranch_scc0 .LBB9_4
.LBB9_2:                                ; =>This Inner Loop Header: Depth=1
	s_waitcnt vmcnt(1)
	v_add_f32_e32 v0, v2, v3
	v_add_f32_e32 v0, v4, v0
	;; [unrolled: 1-line block ×3, first 2 shown]
	s_waitcnt vmcnt(0)
	v_add_f32_e32 v0, v6, v0
	v_add_f32_e32 v0, v7, v0
	;; [unrolled: 1-line block ×4, first 2 shown]
	s_nop 1
	v_mov_b32_dpp v12, v0 row_shr:1 row_mask:0xf bank_mask:0xf
	v_add_f32_e32 v12, v0, v12
	v_cndmask_b32_e32 v0, v12, v0, vcc
	s_nop 1
	v_mov_b32_dpp v12, v0 row_shr:2 row_mask:0xf bank_mask:0xf
	v_add_f32_e32 v12, v0, v12
	v_cndmask_b32_e64 v0, v0, v12, s[0:1]
	s_nop 1
	v_mov_b32_dpp v12, v0 row_shr:4 row_mask:0xf bank_mask:0xf
	v_add_f32_e32 v12, v0, v12
	v_cndmask_b32_e64 v0, v0, v12, s[2:3]
	;; [unrolled: 4-line block ×3, first 2 shown]
	s_nop 1
	v_mov_b32_dpp v12, v0 row_bcast:15 row_mask:0xf bank_mask:0xf
	v_add_f32_e32 v12, v0, v12
	v_cndmask_b32_e64 v0, v12, v0, s[6:7]
	s_nop 1
	v_mov_b32_dpp v12, v0 row_bcast:31 row_mask:0xf bank_mask:0xf
	v_add_f32_e32 v12, v0, v12
	v_cndmask_b32_e64 v0, v0, v12, s[8:9]
	s_and_saveexec_b64 s[16:17], s[10:11]
	s_cbranch_execz .LBB9_1
; %bb.3:                                ;   in Loop: Header=BB9_2 Depth=1
	ds_write_b32 v11, v0
	s_branch .LBB9_1
.LBB9_4:
	v_mov_b32_e32 v0, s14
	v_mov_b32_e32 v1, s15
	v_lshl_add_u64 v[10:11], v[10:11], 2, v[0:1]
	global_store_dwordx3 v[10:11], v[2:4], off
	v_mov_b32_e32 v0, v5
	v_mov_b32_e32 v1, v6
	;; [unrolled: 1-line block ×4, first 2 shown]
	global_store_dwordx4 v[10:11], v[0:3], off offset:12
	global_store_dword v[10:11], v9, off offset:28
	s_endpgm
	.section	.rodata,"a",@progbits
	.p2align	6, 0x0
	.amdhsa_kernel _Z6kernelI14inclusive_scanILN6hipcub18BlockScanAlgorithmE1EEfLj64ELj8ELj100EEvPKT0_PS4_S4_
		.amdhsa_group_segment_fixed_size 4
		.amdhsa_private_segment_fixed_size 0
		.amdhsa_kernarg_size 280
		.amdhsa_user_sgpr_count 2
		.amdhsa_user_sgpr_dispatch_ptr 0
		.amdhsa_user_sgpr_queue_ptr 0
		.amdhsa_user_sgpr_kernarg_segment_ptr 1
		.amdhsa_user_sgpr_dispatch_id 0
		.amdhsa_user_sgpr_kernarg_preload_length 0
		.amdhsa_user_sgpr_kernarg_preload_offset 0
		.amdhsa_user_sgpr_private_segment_size 0
		.amdhsa_uses_dynamic_stack 0
		.amdhsa_enable_private_segment 0
		.amdhsa_system_sgpr_workgroup_id_x 1
		.amdhsa_system_sgpr_workgroup_id_y 0
		.amdhsa_system_sgpr_workgroup_id_z 0
		.amdhsa_system_sgpr_workgroup_info 0
		.amdhsa_system_vgpr_workitem_id 0
		.amdhsa_next_free_vgpr 14
		.amdhsa_next_free_sgpr 19
		.amdhsa_accum_offset 16
		.amdhsa_reserve_vcc 1
		.amdhsa_float_round_mode_32 0
		.amdhsa_float_round_mode_16_64 0
		.amdhsa_float_denorm_mode_32 3
		.amdhsa_float_denorm_mode_16_64 3
		.amdhsa_dx10_clamp 1
		.amdhsa_ieee_mode 1
		.amdhsa_fp16_overflow 0
		.amdhsa_tg_split 0
		.amdhsa_exception_fp_ieee_invalid_op 0
		.amdhsa_exception_fp_denorm_src 0
		.amdhsa_exception_fp_ieee_div_zero 0
		.amdhsa_exception_fp_ieee_overflow 0
		.amdhsa_exception_fp_ieee_underflow 0
		.amdhsa_exception_fp_ieee_inexact 0
		.amdhsa_exception_int_div_zero 0
	.end_amdhsa_kernel
	.section	.text._Z6kernelI14inclusive_scanILN6hipcub18BlockScanAlgorithmE1EEfLj64ELj8ELj100EEvPKT0_PS4_S4_,"axG",@progbits,_Z6kernelI14inclusive_scanILN6hipcub18BlockScanAlgorithmE1EEfLj64ELj8ELj100EEvPKT0_PS4_S4_,comdat
.Lfunc_end9:
	.size	_Z6kernelI14inclusive_scanILN6hipcub18BlockScanAlgorithmE1EEfLj64ELj8ELj100EEvPKT0_PS4_S4_, .Lfunc_end9-_Z6kernelI14inclusive_scanILN6hipcub18BlockScanAlgorithmE1EEfLj64ELj8ELj100EEvPKT0_PS4_S4_
                                        ; -- End function
	.section	.AMDGPU.csdata,"",@progbits
; Kernel info:
; codeLenInByte = 524
; NumSgprs: 25
; NumVgprs: 14
; NumAgprs: 0
; TotalNumVgprs: 14
; ScratchSize: 0
; MemoryBound: 0
; FloatMode: 240
; IeeeMode: 1
; LDSByteSize: 4 bytes/workgroup (compile time only)
; SGPRBlocks: 3
; VGPRBlocks: 1
; NumSGPRsForWavesPerEU: 25
; NumVGPRsForWavesPerEU: 14
; AccumOffset: 16
; Occupancy: 8
; WaveLimiterHint : 0
; COMPUTE_PGM_RSRC2:SCRATCH_EN: 0
; COMPUTE_PGM_RSRC2:USER_SGPR: 2
; COMPUTE_PGM_RSRC2:TRAP_HANDLER: 0
; COMPUTE_PGM_RSRC2:TGID_X_EN: 1
; COMPUTE_PGM_RSRC2:TGID_Y_EN: 0
; COMPUTE_PGM_RSRC2:TGID_Z_EN: 0
; COMPUTE_PGM_RSRC2:TIDIG_COMP_CNT: 0
; COMPUTE_PGM_RSRC3_GFX90A:ACCUM_OFFSET: 3
; COMPUTE_PGM_RSRC3_GFX90A:TG_SPLIT: 0
	.section	.text._Z6kernelI14inclusive_scanILN6hipcub18BlockScanAlgorithmE1EEfLj64ELj11ELj100EEvPKT0_PS4_S4_,"axG",@progbits,_Z6kernelI14inclusive_scanILN6hipcub18BlockScanAlgorithmE1EEfLj64ELj11ELj100EEvPKT0_PS4_S4_,comdat
	.protected	_Z6kernelI14inclusive_scanILN6hipcub18BlockScanAlgorithmE1EEfLj64ELj11ELj100EEvPKT0_PS4_S4_ ; -- Begin function _Z6kernelI14inclusive_scanILN6hipcub18BlockScanAlgorithmE1EEfLj64ELj11ELj100EEvPKT0_PS4_S4_
	.globl	_Z6kernelI14inclusive_scanILN6hipcub18BlockScanAlgorithmE1EEfLj64ELj11ELj100EEvPKT0_PS4_S4_
	.p2align	8
	.type	_Z6kernelI14inclusive_scanILN6hipcub18BlockScanAlgorithmE1EEfLj64ELj11ELj100EEvPKT0_PS4_S4_,@function
_Z6kernelI14inclusive_scanILN6hipcub18BlockScanAlgorithmE1EEfLj64ELj11ELj100EEvPKT0_PS4_S4_: ; @_Z6kernelI14inclusive_scanILN6hipcub18BlockScanAlgorithmE1EEfLj64ELj11ELj100EEvPKT0_PS4_S4_
; %bb.0:
	s_load_dword s3, s[0:1], 0x24
	s_load_dwordx4 s[12:15], s[0:1], 0x0
	v_mov_b32_e32 v3, 0
	v_mov_b32_e32 v5, v3
	;; [unrolled: 1-line block ×3, first 2 shown]
	s_waitcnt lgkmcnt(0)
	s_and_b32 s0, s3, 0xffff
	s_mul_i32 s2, s2, s0
	v_add_u32_e32 v1, s2, v0
	v_mul_lo_u32 v2, v1, 11
	v_lshl_add_u64 v[18:19], v[2:3], 2, s[12:13]
	v_add_u32_e32 v4, 1, v2
	v_add_u32_e32 v6, 2, v2
	;; [unrolled: 1-line block ×3, first 2 shown]
	v_mov_b32_e32 v9, v3
	v_add_u32_e32 v10, 4, v2
	v_mov_b32_e32 v11, v3
	v_add_u32_e32 v12, 5, v2
	;; [unrolled: 2-line block ×4, first 2 shown]
	v_mov_b32_e32 v17, v3
	v_lshl_add_u64 v[20:21], v[4:5], 2, s[12:13]
	v_lshl_add_u64 v[22:23], v[6:7], 2, s[12:13]
	;; [unrolled: 1-line block ×7, first 2 shown]
	global_load_dword v30, v[18:19], off
	global_load_dword v29, v[20:21], off
	;; [unrolled: 1-line block ×8, first 2 shown]
	v_add_u32_e32 v18, 8, v2
	v_mov_b32_e32 v19, v3
	v_lshl_add_u64 v[34:35], v[18:19], 2, s[12:13]
	v_add_u32_e32 v20, 9, v2
	v_mov_b32_e32 v21, v3
	v_add_u32_e32 v22, 10, v2
	v_mov_b32_e32 v23, v3
	v_lshl_add_u64 v[36:37], v[20:21], 2, s[12:13]
	v_lshl_add_u64 v[38:39], v[22:23], 2, s[12:13]
	global_load_dword v33, v[34:35], off
	global_load_dword v32, v[36:37], off
	;; [unrolled: 1-line block ×3, first 2 shown]
	v_mbcnt_lo_u32_b32 v34, -1, 0
	v_mbcnt_hi_u32_b32 v34, -1, v34
	v_and_b32_e32 v35, 15, v34
	v_cmp_eq_u32_e32 vcc, 0, v35
	v_cmp_lt_u32_e64 s[0:1], 1, v35
	v_cmp_lt_u32_e64 s[2:3], 3, v35
	;; [unrolled: 1-line block ×3, first 2 shown]
	v_and_b32_e32 v35, 16, v34
	v_cmp_eq_u32_e64 s[6:7], 0, v35
	v_add_u32_e32 v35, -1, v34
	v_and_b32_e32 v36, 64, v34
	v_cmp_lt_i32_e64 s[12:13], v35, v36
	v_cmp_lt_u32_e64 s[8:9], 31, v34
	v_cmp_eq_u32_e64 s[10:11], 63, v0
	v_cndmask_b32_e64 v34, v35, v34, s[12:13]
	v_lshlrev_b32_e32 v34, 2, v34
	v_cmp_eq_u32_e64 s[12:13], 0, v0
	s_movk_i32 s18, 0x64
	s_branch .LBB10_2
.LBB10_1:                               ;   in Loop: Header=BB10_2 Depth=1
	s_or_b64 exec, exec, s[16:17]
	ds_bpermute_b32 v0, v34, v0
	s_add_i32 s18, s18, -1
	s_cmp_lg_u32 s18, 0
	s_waitcnt lgkmcnt(0)
	; wave barrier
	s_waitcnt lgkmcnt(0)
	v_add_f32_e32 v0, v30, v0
	v_cndmask_b32_e64 v30, v0, v30, s[12:13]
	v_add_f32_e32 v29, v29, v30
	v_add_f32_e32 v28, v28, v29
	;; [unrolled: 1-line block ×10, first 2 shown]
	s_cbranch_scc0 .LBB10_4
.LBB10_2:                               ; =>This Inner Loop Header: Depth=1
	s_waitcnt vmcnt(9)
	v_add_f32_e32 v0, v29, v30
	s_waitcnt vmcnt(8)
	v_add_f32_e32 v0, v28, v0
	;; [unrolled: 2-line block ×10, first 2 shown]
	s_nop 1
	v_mov_b32_dpp v35, v0 row_shr:1 row_mask:0xf bank_mask:0xf
	v_add_f32_e32 v35, v0, v35
	v_cndmask_b32_e32 v0, v35, v0, vcc
	s_nop 1
	v_mov_b32_dpp v35, v0 row_shr:2 row_mask:0xf bank_mask:0xf
	v_add_f32_e32 v35, v0, v35
	v_cndmask_b32_e64 v0, v0, v35, s[0:1]
	s_nop 1
	v_mov_b32_dpp v35, v0 row_shr:4 row_mask:0xf bank_mask:0xf
	v_add_f32_e32 v35, v0, v35
	v_cndmask_b32_e64 v0, v0, v35, s[2:3]
	;; [unrolled: 4-line block ×3, first 2 shown]
	s_nop 1
	v_mov_b32_dpp v35, v0 row_bcast:15 row_mask:0xf bank_mask:0xf
	v_add_f32_e32 v35, v0, v35
	v_cndmask_b32_e64 v0, v35, v0, s[6:7]
	s_nop 1
	v_mov_b32_dpp v35, v0 row_bcast:31 row_mask:0xf bank_mask:0xf
	v_add_f32_e32 v35, v0, v35
	v_cndmask_b32_e64 v0, v0, v35, s[8:9]
	s_and_saveexec_b64 s[16:17], s[10:11]
	s_cbranch_execz .LBB10_1
; %bb.3:                                ;   in Loop: Header=BB10_2 Depth=1
	ds_write_b32 v3, v0
	s_branch .LBB10_1
.LBB10_4:
	v_lshl_add_u64 v[2:3], v[2:3], 2, s[14:15]
	global_store_dword v[2:3], v30, off
	v_lshl_add_u64 v[2:3], v[4:5], 2, s[14:15]
	global_store_dword v[2:3], v29, off
	;; [unrolled: 2-line block ×11, first 2 shown]
	s_endpgm
	.section	.rodata,"a",@progbits
	.p2align	6, 0x0
	.amdhsa_kernel _Z6kernelI14inclusive_scanILN6hipcub18BlockScanAlgorithmE1EEfLj64ELj11ELj100EEvPKT0_PS4_S4_
		.amdhsa_group_segment_fixed_size 4
		.amdhsa_private_segment_fixed_size 0
		.amdhsa_kernarg_size 280
		.amdhsa_user_sgpr_count 2
		.amdhsa_user_sgpr_dispatch_ptr 0
		.amdhsa_user_sgpr_queue_ptr 0
		.amdhsa_user_sgpr_kernarg_segment_ptr 1
		.amdhsa_user_sgpr_dispatch_id 0
		.amdhsa_user_sgpr_kernarg_preload_length 0
		.amdhsa_user_sgpr_kernarg_preload_offset 0
		.amdhsa_user_sgpr_private_segment_size 0
		.amdhsa_uses_dynamic_stack 0
		.amdhsa_enable_private_segment 0
		.amdhsa_system_sgpr_workgroup_id_x 1
		.amdhsa_system_sgpr_workgroup_id_y 0
		.amdhsa_system_sgpr_workgroup_id_z 0
		.amdhsa_system_sgpr_workgroup_info 0
		.amdhsa_system_vgpr_workitem_id 0
		.amdhsa_next_free_vgpr 42
		.amdhsa_next_free_sgpr 19
		.amdhsa_accum_offset 44
		.amdhsa_reserve_vcc 1
		.amdhsa_float_round_mode_32 0
		.amdhsa_float_round_mode_16_64 0
		.amdhsa_float_denorm_mode_32 3
		.amdhsa_float_denorm_mode_16_64 3
		.amdhsa_dx10_clamp 1
		.amdhsa_ieee_mode 1
		.amdhsa_fp16_overflow 0
		.amdhsa_tg_split 0
		.amdhsa_exception_fp_ieee_invalid_op 0
		.amdhsa_exception_fp_denorm_src 0
		.amdhsa_exception_fp_ieee_div_zero 0
		.amdhsa_exception_fp_ieee_overflow 0
		.amdhsa_exception_fp_ieee_underflow 0
		.amdhsa_exception_fp_ieee_inexact 0
		.amdhsa_exception_int_div_zero 0
	.end_amdhsa_kernel
	.section	.text._Z6kernelI14inclusive_scanILN6hipcub18BlockScanAlgorithmE1EEfLj64ELj11ELj100EEvPKT0_PS4_S4_,"axG",@progbits,_Z6kernelI14inclusive_scanILN6hipcub18BlockScanAlgorithmE1EEfLj64ELj11ELj100EEvPKT0_PS4_S4_,comdat
.Lfunc_end10:
	.size	_Z6kernelI14inclusive_scanILN6hipcub18BlockScanAlgorithmE1EEfLj64ELj11ELj100EEvPKT0_PS4_S4_, .Lfunc_end10-_Z6kernelI14inclusive_scanILN6hipcub18BlockScanAlgorithmE1EEfLj64ELj11ELj100EEvPKT0_PS4_S4_
                                        ; -- End function
	.section	.AMDGPU.csdata,"",@progbits
; Kernel info:
; codeLenInByte = 928
; NumSgprs: 25
; NumVgprs: 42
; NumAgprs: 0
; TotalNumVgprs: 42
; ScratchSize: 0
; MemoryBound: 0
; FloatMode: 240
; IeeeMode: 1
; LDSByteSize: 4 bytes/workgroup (compile time only)
; SGPRBlocks: 3
; VGPRBlocks: 5
; NumSGPRsForWavesPerEU: 25
; NumVGPRsForWavesPerEU: 42
; AccumOffset: 44
; Occupancy: 8
; WaveLimiterHint : 0
; COMPUTE_PGM_RSRC2:SCRATCH_EN: 0
; COMPUTE_PGM_RSRC2:USER_SGPR: 2
; COMPUTE_PGM_RSRC2:TRAP_HANDLER: 0
; COMPUTE_PGM_RSRC2:TGID_X_EN: 1
; COMPUTE_PGM_RSRC2:TGID_Y_EN: 0
; COMPUTE_PGM_RSRC2:TGID_Z_EN: 0
; COMPUTE_PGM_RSRC2:TIDIG_COMP_CNT: 0
; COMPUTE_PGM_RSRC3_GFX90A:ACCUM_OFFSET: 10
; COMPUTE_PGM_RSRC3_GFX90A:TG_SPLIT: 0
	.section	.text._Z6kernelI14inclusive_scanILN6hipcub18BlockScanAlgorithmE1EEfLj64ELj16ELj100EEvPKT0_PS4_S4_,"axG",@progbits,_Z6kernelI14inclusive_scanILN6hipcub18BlockScanAlgorithmE1EEfLj64ELj16ELj100EEvPKT0_PS4_S4_,comdat
	.protected	_Z6kernelI14inclusive_scanILN6hipcub18BlockScanAlgorithmE1EEfLj64ELj16ELj100EEvPKT0_PS4_S4_ ; -- Begin function _Z6kernelI14inclusive_scanILN6hipcub18BlockScanAlgorithmE1EEfLj64ELj16ELj100EEvPKT0_PS4_S4_
	.globl	_Z6kernelI14inclusive_scanILN6hipcub18BlockScanAlgorithmE1EEfLj64ELj16ELj100EEvPKT0_PS4_S4_
	.p2align	8
	.type	_Z6kernelI14inclusive_scanILN6hipcub18BlockScanAlgorithmE1EEfLj64ELj16ELj100EEvPKT0_PS4_S4_,@function
_Z6kernelI14inclusive_scanILN6hipcub18BlockScanAlgorithmE1EEfLj64ELj16ELj100EEvPKT0_PS4_S4_: ; @_Z6kernelI14inclusive_scanILN6hipcub18BlockScanAlgorithmE1EEfLj64ELj16ELj100EEvPKT0_PS4_S4_
; %bb.0:
	s_load_dwordx4 s[12:15], s[0:1], 0x0
	s_load_dword s3, s[0:1], 0x24
	v_mov_b32_e32 v19, 0
	v_mbcnt_lo_u32_b32 v1, -1, 0
	v_mbcnt_hi_u32_b32 v1, -1, v1
	s_waitcnt lgkmcnt(0)
	v_mov_b32_e32 v2, s12
	s_and_b32 s0, s3, 0xffff
	s_mul_i32 s2, s2, s0
	v_mov_b32_e32 v3, s13
	v_add_lshl_u32 v18, s2, v0, 4
	v_lshl_add_u64 v[20:21], v[18:19], 2, v[2:3]
	global_load_dwordx4 v[2:5], v[20:21], off offset:48
	global_load_dwordx4 v[6:9], v[20:21], off offset:32
	global_load_dwordx4 v[14:17], v[20:21], off
	global_load_dwordx4 v[10:13], v[20:21], off offset:16
	v_and_b32_e32 v20, 15, v1
	v_cmp_eq_u32_e32 vcc, 0, v20
	v_cmp_lt_u32_e64 s[0:1], 1, v20
	v_cmp_lt_u32_e64 s[2:3], 3, v20
	;; [unrolled: 1-line block ×3, first 2 shown]
	v_and_b32_e32 v20, 16, v1
	v_cmp_eq_u32_e64 s[6:7], 0, v20
	v_add_u32_e32 v20, -1, v1
	v_and_b32_e32 v21, 64, v1
	v_cmp_lt_i32_e64 s[12:13], v20, v21
	v_cmp_lt_u32_e64 s[8:9], 31, v1
	v_cmp_eq_u32_e64 s[10:11], 63, v0
	v_cndmask_b32_e64 v1, v20, v1, s[12:13]
	v_lshlrev_b32_e32 v1, 2, v1
	v_cmp_eq_u32_e64 s[12:13], 0, v0
	s_movk_i32 s18, 0x64
	s_branch .LBB11_2
.LBB11_1:                               ;   in Loop: Header=BB11_2 Depth=1
	s_or_b64 exec, exec, s[16:17]
	ds_bpermute_b32 v0, v1, v0
	s_add_i32 s18, s18, -1
	s_cmp_lg_u32 s18, 0
	s_waitcnt lgkmcnt(0)
	; wave barrier
	s_waitcnt lgkmcnt(0)
	v_add_f32_e32 v0, v14, v0
	v_cndmask_b32_e64 v14, v0, v14, s[12:13]
	v_add_f32_e32 v15, v15, v14
	v_add_f32_e32 v16, v16, v15
	v_add_f32_e32 v17, v17, v16
	v_add_f32_e32 v10, v10, v17
	v_add_f32_e32 v11, v11, v10
	v_add_f32_e32 v12, v12, v11
	v_add_f32_e32 v13, v13, v12
	v_add_f32_e32 v6, v6, v13
	v_add_f32_e32 v7, v7, v6
	v_add_f32_e32 v8, v8, v7
	v_add_f32_e32 v9, v9, v8
	v_add_f32_e32 v2, v2, v9
	v_add_f32_e32 v3, v3, v2
	v_add_f32_e32 v4, v4, v3
	v_add_f32_e32 v5, v5, v4
	s_cbranch_scc0 .LBB11_4
.LBB11_2:                               ; =>This Inner Loop Header: Depth=1
	s_waitcnt vmcnt(1)
	v_add_f32_e32 v0, v15, v14
	v_add_f32_e32 v0, v16, v0
	;; [unrolled: 1-line block ×3, first 2 shown]
	s_waitcnt vmcnt(0)
	v_add_f32_e32 v0, v10, v0
	v_add_f32_e32 v0, v11, v0
	;; [unrolled: 1-line block ×12, first 2 shown]
	s_nop 1
	v_mov_b32_dpp v20, v0 row_shr:1 row_mask:0xf bank_mask:0xf
	v_add_f32_e32 v20, v0, v20
	v_cndmask_b32_e32 v0, v20, v0, vcc
	s_nop 1
	v_mov_b32_dpp v20, v0 row_shr:2 row_mask:0xf bank_mask:0xf
	v_add_f32_e32 v20, v0, v20
	v_cndmask_b32_e64 v0, v0, v20, s[0:1]
	s_nop 1
	v_mov_b32_dpp v20, v0 row_shr:4 row_mask:0xf bank_mask:0xf
	v_add_f32_e32 v20, v0, v20
	v_cndmask_b32_e64 v0, v0, v20, s[2:3]
	;; [unrolled: 4-line block ×3, first 2 shown]
	s_nop 1
	v_mov_b32_dpp v20, v0 row_bcast:15 row_mask:0xf bank_mask:0xf
	v_add_f32_e32 v20, v0, v20
	v_cndmask_b32_e64 v0, v20, v0, s[6:7]
	s_nop 1
	v_mov_b32_dpp v20, v0 row_bcast:31 row_mask:0xf bank_mask:0xf
	v_add_f32_e32 v20, v0, v20
	v_cndmask_b32_e64 v0, v0, v20, s[8:9]
	s_and_saveexec_b64 s[16:17], s[10:11]
	s_cbranch_execz .LBB11_1
; %bb.3:                                ;   in Loop: Header=BB11_2 Depth=1
	ds_write_b32 v19, v0
	s_branch .LBB11_1
.LBB11_4:
	v_mov_b32_e32 v0, s14
	v_mov_b32_e32 v1, s15
	v_lshl_add_u64 v[0:1], v[18:19], 2, v[0:1]
	global_store_dwordx4 v[0:1], v[14:17], off
	global_store_dwordx4 v[0:1], v[10:13], off offset:16
	global_store_dwordx4 v[0:1], v[6:9], off offset:32
	;; [unrolled: 1-line block ×3, first 2 shown]
	s_endpgm
	.section	.rodata,"a",@progbits
	.p2align	6, 0x0
	.amdhsa_kernel _Z6kernelI14inclusive_scanILN6hipcub18BlockScanAlgorithmE1EEfLj64ELj16ELj100EEvPKT0_PS4_S4_
		.amdhsa_group_segment_fixed_size 4
		.amdhsa_private_segment_fixed_size 0
		.amdhsa_kernarg_size 280
		.amdhsa_user_sgpr_count 2
		.amdhsa_user_sgpr_dispatch_ptr 0
		.amdhsa_user_sgpr_queue_ptr 0
		.amdhsa_user_sgpr_kernarg_segment_ptr 1
		.amdhsa_user_sgpr_dispatch_id 0
		.amdhsa_user_sgpr_kernarg_preload_length 0
		.amdhsa_user_sgpr_kernarg_preload_offset 0
		.amdhsa_user_sgpr_private_segment_size 0
		.amdhsa_uses_dynamic_stack 0
		.amdhsa_enable_private_segment 0
		.amdhsa_system_sgpr_workgroup_id_x 1
		.amdhsa_system_sgpr_workgroup_id_y 0
		.amdhsa_system_sgpr_workgroup_id_z 0
		.amdhsa_system_sgpr_workgroup_info 0
		.amdhsa_system_vgpr_workitem_id 0
		.amdhsa_next_free_vgpr 22
		.amdhsa_next_free_sgpr 19
		.amdhsa_accum_offset 24
		.amdhsa_reserve_vcc 1
		.amdhsa_float_round_mode_32 0
		.amdhsa_float_round_mode_16_64 0
		.amdhsa_float_denorm_mode_32 3
		.amdhsa_float_denorm_mode_16_64 3
		.amdhsa_dx10_clamp 1
		.amdhsa_ieee_mode 1
		.amdhsa_fp16_overflow 0
		.amdhsa_tg_split 0
		.amdhsa_exception_fp_ieee_invalid_op 0
		.amdhsa_exception_fp_denorm_src 0
		.amdhsa_exception_fp_ieee_div_zero 0
		.amdhsa_exception_fp_ieee_overflow 0
		.amdhsa_exception_fp_ieee_underflow 0
		.amdhsa_exception_fp_ieee_inexact 0
		.amdhsa_exception_int_div_zero 0
	.end_amdhsa_kernel
	.section	.text._Z6kernelI14inclusive_scanILN6hipcub18BlockScanAlgorithmE1EEfLj64ELj16ELj100EEvPKT0_PS4_S4_,"axG",@progbits,_Z6kernelI14inclusive_scanILN6hipcub18BlockScanAlgorithmE1EEfLj64ELj16ELj100EEvPKT0_PS4_S4_,comdat
.Lfunc_end11:
	.size	_Z6kernelI14inclusive_scanILN6hipcub18BlockScanAlgorithmE1EEfLj64ELj16ELj100EEvPKT0_PS4_S4_, .Lfunc_end11-_Z6kernelI14inclusive_scanILN6hipcub18BlockScanAlgorithmE1EEfLj64ELj16ELj100EEvPKT0_PS4_S4_
                                        ; -- End function
	.section	.AMDGPU.csdata,"",@progbits
; Kernel info:
; codeLenInByte = 596
; NumSgprs: 25
; NumVgprs: 22
; NumAgprs: 0
; TotalNumVgprs: 22
; ScratchSize: 0
; MemoryBound: 0
; FloatMode: 240
; IeeeMode: 1
; LDSByteSize: 4 bytes/workgroup (compile time only)
; SGPRBlocks: 3
; VGPRBlocks: 2
; NumSGPRsForWavesPerEU: 25
; NumVGPRsForWavesPerEU: 22
; AccumOffset: 24
; Occupancy: 8
; WaveLimiterHint : 0
; COMPUTE_PGM_RSRC2:SCRATCH_EN: 0
; COMPUTE_PGM_RSRC2:USER_SGPR: 2
; COMPUTE_PGM_RSRC2:TRAP_HANDLER: 0
; COMPUTE_PGM_RSRC2:TGID_X_EN: 1
; COMPUTE_PGM_RSRC2:TGID_Y_EN: 0
; COMPUTE_PGM_RSRC2:TGID_Z_EN: 0
; COMPUTE_PGM_RSRC2:TIDIG_COMP_CNT: 0
; COMPUTE_PGM_RSRC3_GFX90A:ACCUM_OFFSET: 5
; COMPUTE_PGM_RSRC3_GFX90A:TG_SPLIT: 0
	.section	.text._Z6kernelI14inclusive_scanILN6hipcub18BlockScanAlgorithmE1EEdLj64ELj1ELj100EEvPKT0_PS4_S4_,"axG",@progbits,_Z6kernelI14inclusive_scanILN6hipcub18BlockScanAlgorithmE1EEdLj64ELj1ELj100EEvPKT0_PS4_S4_,comdat
	.protected	_Z6kernelI14inclusive_scanILN6hipcub18BlockScanAlgorithmE1EEdLj64ELj1ELj100EEvPKT0_PS4_S4_ ; -- Begin function _Z6kernelI14inclusive_scanILN6hipcub18BlockScanAlgorithmE1EEdLj64ELj1ELj100EEvPKT0_PS4_S4_
	.globl	_Z6kernelI14inclusive_scanILN6hipcub18BlockScanAlgorithmE1EEdLj64ELj1ELj100EEvPKT0_PS4_S4_
	.p2align	8
	.type	_Z6kernelI14inclusive_scanILN6hipcub18BlockScanAlgorithmE1EEdLj64ELj1ELj100EEvPKT0_PS4_S4_,@function
_Z6kernelI14inclusive_scanILN6hipcub18BlockScanAlgorithmE1EEdLj64ELj1ELj100EEvPKT0_PS4_S4_: ; @_Z6kernelI14inclusive_scanILN6hipcub18BlockScanAlgorithmE1EEdLj64ELj1ELj100EEvPKT0_PS4_S4_
; %bb.0:
	s_load_dwordx4 s[12:15], s[0:1], 0x0
	s_load_dword s3, s[0:1], 0x24
	v_mov_b32_e32 v3, 0
	v_mbcnt_lo_u32_b32 v1, -1, 0
	v_mbcnt_hi_u32_b32 v1, -1, v1
	s_waitcnt lgkmcnt(0)
	v_mov_b32_e32 v4, s12
	s_and_b32 s0, s3, 0xffff
	s_mul_i32 s2, s2, s0
	v_mov_b32_e32 v5, s13
	v_add_u32_e32 v2, s2, v0
	v_lshl_add_u64 v[4:5], v[2:3], 3, v[4:5]
	global_load_dwordx2 v[4:5], v[4:5], off
	v_and_b32_e32 v6, 15, v1
	v_cmp_eq_u32_e32 vcc, 0, v6
	v_cmp_lt_u32_e64 s[0:1], 1, v6
	v_cmp_lt_u32_e64 s[2:3], 3, v6
	;; [unrolled: 1-line block ×3, first 2 shown]
	v_and_b32_e32 v6, 16, v1
	v_cmp_eq_u32_e64 s[6:7], 0, v6
	v_cmp_eq_u32_e64 s[8:9], 0, v1
	;; [unrolled: 1-line block ×3, first 2 shown]
	v_cmp_lt_u32_e64 s[12:13], 31, v1
	s_movk_i32 s18, 0x64
	s_branch .LBB12_2
.LBB12_1:                               ;   in Loop: Header=BB12_2 Depth=1
	s_or_b64 exec, exec, s[16:17]
	s_add_i32 s18, s18, -1
	s_cmp_lg_u32 s18, 0
	s_waitcnt lgkmcnt(0)
	; wave barrier
	s_waitcnt lgkmcnt(0)
	s_cbranch_scc0 .LBB12_4
.LBB12_2:                               ; =>This Inner Loop Header: Depth=1
	s_waitcnt vmcnt(0)
	v_mov_b32_dpp v0, v4 row_shr:1 row_mask:0xf bank_mask:0xf
	v_mov_b32_dpp v1, v5 row_shr:1 row_mask:0xf bank_mask:0xf
	v_add_f64 v[0:1], v[4:5], v[0:1]
	v_cndmask_b32_e32 v0, v0, v4, vcc
	v_cndmask_b32_e32 v1, v1, v5, vcc
	s_nop 0
	v_mov_b32_dpp v6, v0 row_shr:2 row_mask:0xf bank_mask:0xf
	v_mov_b32_dpp v7, v1 row_shr:2 row_mask:0xf bank_mask:0xf
	v_add_f64 v[6:7], v[0:1], v[6:7]
	v_cndmask_b32_e64 v0, v0, v6, s[0:1]
	v_cndmask_b32_e64 v1, v1, v7, s[0:1]
	s_nop 0
	v_mov_b32_dpp v6, v0 row_shr:4 row_mask:0xf bank_mask:0xf
	v_mov_b32_dpp v7, v1 row_shr:4 row_mask:0xf bank_mask:0xf
	v_add_f64 v[6:7], v[0:1], v[6:7]
	v_cndmask_b32_e64 v0, v0, v6, s[2:3]
	v_cndmask_b32_e64 v1, v1, v7, s[2:3]
	;; [unrolled: 6-line block ×3, first 2 shown]
	s_nop 0
	v_mov_b32_dpp v6, v0 row_bcast:15 row_mask:0xf bank_mask:0xf
	v_mov_b32_dpp v7, v1 row_bcast:15 row_mask:0xf bank_mask:0xf
	v_add_f64 v[6:7], v[0:1], v[6:7]
	v_cndmask_b32_e64 v0, v6, v0, s[6:7]
	v_cndmask_b32_e64 v1, v7, v1, s[6:7]
	s_nop 0
	v_mov_b32_dpp v6, v0 row_bcast:31 row_mask:0xf bank_mask:0xf
	v_mov_b32_dpp v7, v1 row_bcast:31 row_mask:0xf bank_mask:0xf
	v_add_f64 v[6:7], v[0:1], v[6:7]
	v_cndmask_b32_e64 v0, v0, v6, s[12:13]
	v_cndmask_b32_e64 v1, v1, v7, s[12:13]
	;; [unrolled: 1-line block ×4, first 2 shown]
	s_and_saveexec_b64 s[16:17], s[10:11]
	s_cbranch_execz .LBB12_1
; %bb.3:                                ;   in Loop: Header=BB12_2 Depth=1
	ds_write_b64 v3, v[4:5]
	s_branch .LBB12_1
.LBB12_4:
	v_mov_b32_e32 v0, s14
	v_mov_b32_e32 v1, s15
	v_lshl_add_u64 v[0:1], v[2:3], 3, v[0:1]
	global_store_dwordx2 v[0:1], v[4:5], off
	s_endpgm
	.section	.rodata,"a",@progbits
	.p2align	6, 0x0
	.amdhsa_kernel _Z6kernelI14inclusive_scanILN6hipcub18BlockScanAlgorithmE1EEdLj64ELj1ELj100EEvPKT0_PS4_S4_
		.amdhsa_group_segment_fixed_size 8
		.amdhsa_private_segment_fixed_size 0
		.amdhsa_kernarg_size 280
		.amdhsa_user_sgpr_count 2
		.amdhsa_user_sgpr_dispatch_ptr 0
		.amdhsa_user_sgpr_queue_ptr 0
		.amdhsa_user_sgpr_kernarg_segment_ptr 1
		.amdhsa_user_sgpr_dispatch_id 0
		.amdhsa_user_sgpr_kernarg_preload_length 0
		.amdhsa_user_sgpr_kernarg_preload_offset 0
		.amdhsa_user_sgpr_private_segment_size 0
		.amdhsa_uses_dynamic_stack 0
		.amdhsa_enable_private_segment 0
		.amdhsa_system_sgpr_workgroup_id_x 1
		.amdhsa_system_sgpr_workgroup_id_y 0
		.amdhsa_system_sgpr_workgroup_id_z 0
		.amdhsa_system_sgpr_workgroup_info 0
		.amdhsa_system_vgpr_workitem_id 0
		.amdhsa_next_free_vgpr 8
		.amdhsa_next_free_sgpr 19
		.amdhsa_accum_offset 8
		.amdhsa_reserve_vcc 1
		.amdhsa_float_round_mode_32 0
		.amdhsa_float_round_mode_16_64 0
		.amdhsa_float_denorm_mode_32 3
		.amdhsa_float_denorm_mode_16_64 3
		.amdhsa_dx10_clamp 1
		.amdhsa_ieee_mode 1
		.amdhsa_fp16_overflow 0
		.amdhsa_tg_split 0
		.amdhsa_exception_fp_ieee_invalid_op 0
		.amdhsa_exception_fp_denorm_src 0
		.amdhsa_exception_fp_ieee_div_zero 0
		.amdhsa_exception_fp_ieee_overflow 0
		.amdhsa_exception_fp_ieee_underflow 0
		.amdhsa_exception_fp_ieee_inexact 0
		.amdhsa_exception_int_div_zero 0
	.end_amdhsa_kernel
	.section	.text._Z6kernelI14inclusive_scanILN6hipcub18BlockScanAlgorithmE1EEdLj64ELj1ELj100EEvPKT0_PS4_S4_,"axG",@progbits,_Z6kernelI14inclusive_scanILN6hipcub18BlockScanAlgorithmE1EEdLj64ELj1ELj100EEvPKT0_PS4_S4_,comdat
.Lfunc_end12:
	.size	_Z6kernelI14inclusive_scanILN6hipcub18BlockScanAlgorithmE1EEdLj64ELj1ELj100EEvPKT0_PS4_S4_, .Lfunc_end12-_Z6kernelI14inclusive_scanILN6hipcub18BlockScanAlgorithmE1EEdLj64ELj1ELj100EEvPKT0_PS4_S4_
                                        ; -- End function
	.section	.AMDGPU.csdata,"",@progbits
; Kernel info:
; codeLenInByte = 500
; NumSgprs: 25
; NumVgprs: 8
; NumAgprs: 0
; TotalNumVgprs: 8
; ScratchSize: 0
; MemoryBound: 0
; FloatMode: 240
; IeeeMode: 1
; LDSByteSize: 8 bytes/workgroup (compile time only)
; SGPRBlocks: 3
; VGPRBlocks: 0
; NumSGPRsForWavesPerEU: 25
; NumVGPRsForWavesPerEU: 8
; AccumOffset: 8
; Occupancy: 8
; WaveLimiterHint : 0
; COMPUTE_PGM_RSRC2:SCRATCH_EN: 0
; COMPUTE_PGM_RSRC2:USER_SGPR: 2
; COMPUTE_PGM_RSRC2:TRAP_HANDLER: 0
; COMPUTE_PGM_RSRC2:TGID_X_EN: 1
; COMPUTE_PGM_RSRC2:TGID_Y_EN: 0
; COMPUTE_PGM_RSRC2:TGID_Z_EN: 0
; COMPUTE_PGM_RSRC2:TIDIG_COMP_CNT: 0
; COMPUTE_PGM_RSRC3_GFX90A:ACCUM_OFFSET: 1
; COMPUTE_PGM_RSRC3_GFX90A:TG_SPLIT: 0
	.section	.text._Z6kernelI14inclusive_scanILN6hipcub18BlockScanAlgorithmE1EEdLj64ELj3ELj100EEvPKT0_PS4_S4_,"axG",@progbits,_Z6kernelI14inclusive_scanILN6hipcub18BlockScanAlgorithmE1EEdLj64ELj3ELj100EEvPKT0_PS4_S4_,comdat
	.protected	_Z6kernelI14inclusive_scanILN6hipcub18BlockScanAlgorithmE1EEdLj64ELj3ELj100EEvPKT0_PS4_S4_ ; -- Begin function _Z6kernelI14inclusive_scanILN6hipcub18BlockScanAlgorithmE1EEdLj64ELj3ELj100EEvPKT0_PS4_S4_
	.globl	_Z6kernelI14inclusive_scanILN6hipcub18BlockScanAlgorithmE1EEdLj64ELj3ELj100EEvPKT0_PS4_S4_
	.p2align	8
	.type	_Z6kernelI14inclusive_scanILN6hipcub18BlockScanAlgorithmE1EEdLj64ELj3ELj100EEvPKT0_PS4_S4_,@function
_Z6kernelI14inclusive_scanILN6hipcub18BlockScanAlgorithmE1EEdLj64ELj3ELj100EEvPKT0_PS4_S4_: ; @_Z6kernelI14inclusive_scanILN6hipcub18BlockScanAlgorithmE1EEdLj64ELj3ELj100EEvPKT0_PS4_S4_
; %bb.0:
	s_load_dword s3, s[0:1], 0x24
	s_load_dwordx4 s[16:19], s[0:1], 0x0
	v_mov_b32_e32 v3, 0
	v_mov_b32_e32 v5, v3
	;; [unrolled: 1-line block ×3, first 2 shown]
	s_waitcnt lgkmcnt(0)
	s_and_b32 s0, s3, 0xffff
	s_mul_i32 s2, s2, s0
	v_add_u32_e32 v1, s2, v0
	v_lshl_add_u32 v2, v1, 1, v1
	v_lshl_add_u64 v[14:15], v[2:3], 3, s[16:17]
	v_add_u32_e32 v4, 1, v2
	v_add_u32_e32 v6, 2, v2
	v_lshl_add_u64 v[16:17], v[4:5], 3, s[16:17]
	v_lshl_add_u64 v[18:19], v[6:7], 3, s[16:17]
	global_load_dwordx2 v[12:13], v[14:15], off
	global_load_dwordx2 v[10:11], v[16:17], off
	;; [unrolled: 1-line block ×3, first 2 shown]
	v_mbcnt_lo_u32_b32 v1, -1, 0
	v_mbcnt_hi_u32_b32 v1, -1, v1
	v_and_b32_e32 v14, 15, v1
	v_cmp_eq_u32_e32 vcc, 0, v14
	v_cmp_lt_u32_e64 s[0:1], 1, v14
	v_cmp_lt_u32_e64 s[2:3], 3, v14
	;; [unrolled: 1-line block ×3, first 2 shown]
	v_and_b32_e32 v14, 16, v1
	v_cmp_eq_u32_e64 s[6:7], 0, v14
	v_add_u32_e32 v14, -1, v1
	v_and_b32_e32 v15, 64, v1
	v_cmp_lt_i32_e64 s[12:13], v14, v15
	v_cmp_eq_u32_e64 s[8:9], 0, v1
	v_cmp_eq_u32_e64 s[10:11], 63, v0
	v_cndmask_b32_e64 v14, v14, v1, s[12:13]
	v_lshlrev_b32_e32 v14, 2, v14
	v_cmp_eq_u32_e64 s[12:13], 0, v0
	v_cmp_lt_u32_e64 s[14:15], 31, v1
	s_movk_i32 s20, 0x64
	s_branch .LBB13_2
.LBB13_1:                               ;   in Loop: Header=BB13_2 Depth=1
	s_or_b64 exec, exec, s[16:17]
	ds_bpermute_b32 v0, v14, v0
	ds_bpermute_b32 v1, v14, v1
	s_add_i32 s20, s20, -1
	s_cmp_lg_u32 s20, 0
	s_waitcnt lgkmcnt(0)
	; wave barrier
	s_waitcnt lgkmcnt(0)
	v_add_f64 v[0:1], v[12:13], v[0:1]
	v_cndmask_b32_e64 v13, v1, v13, s[12:13]
	v_cndmask_b32_e64 v12, v0, v12, s[12:13]
	v_add_f64 v[10:11], v[10:11], v[12:13]
	v_add_f64 v[8:9], v[8:9], v[10:11]
	s_cbranch_scc0 .LBB13_4
.LBB13_2:                               ; =>This Inner Loop Header: Depth=1
	s_waitcnt vmcnt(1)
	v_add_f64 v[0:1], v[12:13], v[10:11]
	s_waitcnt vmcnt(0)
	v_add_f64 v[0:1], v[8:9], v[0:1]
	s_nop 1
	v_mov_b32_dpp v16, v0 row_shr:1 row_mask:0xf bank_mask:0xf
	v_mov_b32_dpp v17, v1 row_shr:1 row_mask:0xf bank_mask:0xf
	v_add_f64 v[16:17], v[0:1], v[16:17]
	v_cndmask_b32_e32 v16, v16, v0, vcc
	v_cndmask_b32_e32 v17, v17, v1, vcc
	s_nop 0
	v_mov_b32_dpp v18, v16 row_shr:2 row_mask:0xf bank_mask:0xf
	v_mov_b32_dpp v19, v17 row_shr:2 row_mask:0xf bank_mask:0xf
	v_add_f64 v[18:19], v[16:17], v[18:19]
	v_cndmask_b32_e64 v16, v16, v18, s[0:1]
	v_cndmask_b32_e64 v17, v17, v19, s[0:1]
	s_nop 0
	v_mov_b32_dpp v18, v16 row_shr:4 row_mask:0xf bank_mask:0xf
	v_mov_b32_dpp v19, v17 row_shr:4 row_mask:0xf bank_mask:0xf
	v_add_f64 v[18:19], v[16:17], v[18:19]
	v_cndmask_b32_e64 v16, v16, v18, s[2:3]
	v_cndmask_b32_e64 v17, v17, v19, s[2:3]
	s_nop 0
	v_mov_b32_dpp v18, v16 row_shr:8 row_mask:0xf bank_mask:0xf
	v_mov_b32_dpp v19, v17 row_shr:8 row_mask:0xf bank_mask:0xf
	v_add_f64 v[18:19], v[16:17], v[18:19]
	v_cndmask_b32_e64 v16, v16, v18, s[4:5]
	v_cndmask_b32_e64 v17, v17, v19, s[4:5]
	s_nop 0
	v_mov_b32_dpp v18, v16 row_bcast:15 row_mask:0xf bank_mask:0xf
	v_mov_b32_dpp v19, v17 row_bcast:15 row_mask:0xf bank_mask:0xf
	v_add_f64 v[18:19], v[16:17], v[18:19]
	v_cndmask_b32_e64 v16, v18, v16, s[6:7]
	v_cndmask_b32_e64 v17, v19, v17, s[6:7]
	s_nop 0
	v_mov_b32_dpp v18, v16 row_bcast:31 row_mask:0xf bank_mask:0xf
	v_mov_b32_dpp v19, v17 row_bcast:31 row_mask:0xf bank_mask:0xf
	v_add_f64 v[18:19], v[16:17], v[18:19]
	v_cndmask_b32_e64 v15, v16, v18, s[14:15]
	v_cndmask_b32_e64 v16, v17, v19, s[14:15]
	;; [unrolled: 1-line block ×4, first 2 shown]
	s_and_saveexec_b64 s[16:17], s[10:11]
	s_cbranch_execz .LBB13_1
; %bb.3:                                ;   in Loop: Header=BB13_2 Depth=1
	ds_write_b64 v3, v[0:1]
	s_branch .LBB13_1
.LBB13_4:
	v_lshl_add_u64 v[0:1], v[2:3], 3, s[18:19]
	global_store_dwordx2 v[0:1], v[12:13], off
	v_lshl_add_u64 v[0:1], v[4:5], 3, s[18:19]
	global_store_dwordx2 v[0:1], v[10:11], off
	;; [unrolled: 2-line block ×3, first 2 shown]
	s_endpgm
	.section	.rodata,"a",@progbits
	.p2align	6, 0x0
	.amdhsa_kernel _Z6kernelI14inclusive_scanILN6hipcub18BlockScanAlgorithmE1EEdLj64ELj3ELj100EEvPKT0_PS4_S4_
		.amdhsa_group_segment_fixed_size 8
		.amdhsa_private_segment_fixed_size 0
		.amdhsa_kernarg_size 280
		.amdhsa_user_sgpr_count 2
		.amdhsa_user_sgpr_dispatch_ptr 0
		.amdhsa_user_sgpr_queue_ptr 0
		.amdhsa_user_sgpr_kernarg_segment_ptr 1
		.amdhsa_user_sgpr_dispatch_id 0
		.amdhsa_user_sgpr_kernarg_preload_length 0
		.amdhsa_user_sgpr_kernarg_preload_offset 0
		.amdhsa_user_sgpr_private_segment_size 0
		.amdhsa_uses_dynamic_stack 0
		.amdhsa_enable_private_segment 0
		.amdhsa_system_sgpr_workgroup_id_x 1
		.amdhsa_system_sgpr_workgroup_id_y 0
		.amdhsa_system_sgpr_workgroup_id_z 0
		.amdhsa_system_sgpr_workgroup_info 0
		.amdhsa_system_vgpr_workitem_id 0
		.amdhsa_next_free_vgpr 20
		.amdhsa_next_free_sgpr 21
		.amdhsa_accum_offset 20
		.amdhsa_reserve_vcc 1
		.amdhsa_float_round_mode_32 0
		.amdhsa_float_round_mode_16_64 0
		.amdhsa_float_denorm_mode_32 3
		.amdhsa_float_denorm_mode_16_64 3
		.amdhsa_dx10_clamp 1
		.amdhsa_ieee_mode 1
		.amdhsa_fp16_overflow 0
		.amdhsa_tg_split 0
		.amdhsa_exception_fp_ieee_invalid_op 0
		.amdhsa_exception_fp_denorm_src 0
		.amdhsa_exception_fp_ieee_div_zero 0
		.amdhsa_exception_fp_ieee_overflow 0
		.amdhsa_exception_fp_ieee_underflow 0
		.amdhsa_exception_fp_ieee_inexact 0
		.amdhsa_exception_int_div_zero 0
	.end_amdhsa_kernel
	.section	.text._Z6kernelI14inclusive_scanILN6hipcub18BlockScanAlgorithmE1EEdLj64ELj3ELj100EEvPKT0_PS4_S4_,"axG",@progbits,_Z6kernelI14inclusive_scanILN6hipcub18BlockScanAlgorithmE1EEdLj64ELj3ELj100EEvPKT0_PS4_S4_,comdat
.Lfunc_end13:
	.size	_Z6kernelI14inclusive_scanILN6hipcub18BlockScanAlgorithmE1EEdLj64ELj3ELj100EEvPKT0_PS4_S4_, .Lfunc_end13-_Z6kernelI14inclusive_scanILN6hipcub18BlockScanAlgorithmE1EEdLj64ELj3ELj100EEvPKT0_PS4_S4_
                                        ; -- End function
	.section	.AMDGPU.csdata,"",@progbits
; Kernel info:
; codeLenInByte = 688
; NumSgprs: 27
; NumVgprs: 20
; NumAgprs: 0
; TotalNumVgprs: 20
; ScratchSize: 0
; MemoryBound: 0
; FloatMode: 240
; IeeeMode: 1
; LDSByteSize: 8 bytes/workgroup (compile time only)
; SGPRBlocks: 3
; VGPRBlocks: 2
; NumSGPRsForWavesPerEU: 27
; NumVGPRsForWavesPerEU: 20
; AccumOffset: 20
; Occupancy: 8
; WaveLimiterHint : 0
; COMPUTE_PGM_RSRC2:SCRATCH_EN: 0
; COMPUTE_PGM_RSRC2:USER_SGPR: 2
; COMPUTE_PGM_RSRC2:TRAP_HANDLER: 0
; COMPUTE_PGM_RSRC2:TGID_X_EN: 1
; COMPUTE_PGM_RSRC2:TGID_Y_EN: 0
; COMPUTE_PGM_RSRC2:TGID_Z_EN: 0
; COMPUTE_PGM_RSRC2:TIDIG_COMP_CNT: 0
; COMPUTE_PGM_RSRC3_GFX90A:ACCUM_OFFSET: 4
; COMPUTE_PGM_RSRC3_GFX90A:TG_SPLIT: 0
	.section	.text._Z6kernelI14inclusive_scanILN6hipcub18BlockScanAlgorithmE1EEdLj64ELj4ELj100EEvPKT0_PS4_S4_,"axG",@progbits,_Z6kernelI14inclusive_scanILN6hipcub18BlockScanAlgorithmE1EEdLj64ELj4ELj100EEvPKT0_PS4_S4_,comdat
	.protected	_Z6kernelI14inclusive_scanILN6hipcub18BlockScanAlgorithmE1EEdLj64ELj4ELj100EEvPKT0_PS4_S4_ ; -- Begin function _Z6kernelI14inclusive_scanILN6hipcub18BlockScanAlgorithmE1EEdLj64ELj4ELj100EEvPKT0_PS4_S4_
	.globl	_Z6kernelI14inclusive_scanILN6hipcub18BlockScanAlgorithmE1EEdLj64ELj4ELj100EEvPKT0_PS4_S4_
	.p2align	8
	.type	_Z6kernelI14inclusive_scanILN6hipcub18BlockScanAlgorithmE1EEdLj64ELj4ELj100EEvPKT0_PS4_S4_,@function
_Z6kernelI14inclusive_scanILN6hipcub18BlockScanAlgorithmE1EEdLj64ELj4ELj100EEvPKT0_PS4_S4_: ; @_Z6kernelI14inclusive_scanILN6hipcub18BlockScanAlgorithmE1EEdLj64ELj4ELj100EEvPKT0_PS4_S4_
; %bb.0:
	s_load_dwordx4 s[16:19], s[0:1], 0x0
	s_load_dword s3, s[0:1], 0x24
	v_mov_b32_e32 v11, 0
	v_mbcnt_lo_u32_b32 v1, -1, 0
	v_mbcnt_hi_u32_b32 v1, -1, v1
	s_waitcnt lgkmcnt(0)
	v_mov_b32_e32 v2, s16
	s_and_b32 s0, s3, 0xffff
	s_mul_i32 s2, s2, s0
	v_mov_b32_e32 v3, s17
	v_add_lshl_u32 v10, s2, v0, 2
	v_lshl_add_u64 v[12:13], v[10:11], 3, v[2:3]
	global_load_dwordx4 v[2:5], v[12:13], off offset:16
	global_load_dwordx4 v[6:9], v[12:13], off
	v_and_b32_e32 v12, 15, v1
	v_cmp_eq_u32_e32 vcc, 0, v12
	v_cmp_lt_u32_e64 s[0:1], 1, v12
	v_cmp_lt_u32_e64 s[2:3], 3, v12
	;; [unrolled: 1-line block ×3, first 2 shown]
	v_and_b32_e32 v12, 16, v1
	v_cmp_eq_u32_e64 s[6:7], 0, v12
	v_add_u32_e32 v12, -1, v1
	v_and_b32_e32 v13, 64, v1
	v_cmp_lt_i32_e64 s[12:13], v12, v13
	v_cmp_eq_u32_e64 s[8:9], 0, v1
	v_cmp_eq_u32_e64 s[10:11], 63, v0
	v_cndmask_b32_e64 v12, v12, v1, s[12:13]
	v_lshlrev_b32_e32 v12, 2, v12
	v_cmp_eq_u32_e64 s[12:13], 0, v0
	v_cmp_lt_u32_e64 s[14:15], 31, v1
	s_movk_i32 s20, 0x64
	s_branch .LBB14_2
.LBB14_1:                               ;   in Loop: Header=BB14_2 Depth=1
	s_or_b64 exec, exec, s[16:17]
	ds_bpermute_b32 v0, v12, v0
	ds_bpermute_b32 v1, v12, v1
	s_add_i32 s20, s20, -1
	s_cmp_lg_u32 s20, 0
	s_waitcnt lgkmcnt(0)
	; wave barrier
	s_waitcnt lgkmcnt(0)
	v_add_f64 v[0:1], v[6:7], v[0:1]
	v_cndmask_b32_e64 v7, v1, v7, s[12:13]
	v_cndmask_b32_e64 v6, v0, v6, s[12:13]
	v_add_f64 v[8:9], v[8:9], v[6:7]
	v_add_f64 v[2:3], v[2:3], v[8:9]
	;; [unrolled: 1-line block ×3, first 2 shown]
	s_cbranch_scc0 .LBB14_4
.LBB14_2:                               ; =>This Inner Loop Header: Depth=1
	s_waitcnt vmcnt(0)
	v_add_f64 v[0:1], v[6:7], v[8:9]
	v_add_f64 v[0:1], v[2:3], v[0:1]
	;; [unrolled: 1-line block ×3, first 2 shown]
	s_nop 1
	v_mov_b32_dpp v14, v0 row_shr:1 row_mask:0xf bank_mask:0xf
	v_mov_b32_dpp v15, v1 row_shr:1 row_mask:0xf bank_mask:0xf
	v_add_f64 v[14:15], v[0:1], v[14:15]
	v_cndmask_b32_e32 v14, v14, v0, vcc
	v_cndmask_b32_e32 v15, v15, v1, vcc
	s_nop 0
	v_mov_b32_dpp v16, v14 row_shr:2 row_mask:0xf bank_mask:0xf
	v_mov_b32_dpp v17, v15 row_shr:2 row_mask:0xf bank_mask:0xf
	v_add_f64 v[16:17], v[14:15], v[16:17]
	v_cndmask_b32_e64 v14, v14, v16, s[0:1]
	v_cndmask_b32_e64 v15, v15, v17, s[0:1]
	s_nop 0
	v_mov_b32_dpp v16, v14 row_shr:4 row_mask:0xf bank_mask:0xf
	v_mov_b32_dpp v17, v15 row_shr:4 row_mask:0xf bank_mask:0xf
	v_add_f64 v[16:17], v[14:15], v[16:17]
	v_cndmask_b32_e64 v14, v14, v16, s[2:3]
	v_cndmask_b32_e64 v15, v15, v17, s[2:3]
	;; [unrolled: 6-line block ×3, first 2 shown]
	s_nop 0
	v_mov_b32_dpp v16, v14 row_bcast:15 row_mask:0xf bank_mask:0xf
	v_mov_b32_dpp v17, v15 row_bcast:15 row_mask:0xf bank_mask:0xf
	v_add_f64 v[16:17], v[14:15], v[16:17]
	v_cndmask_b32_e64 v14, v16, v14, s[6:7]
	v_cndmask_b32_e64 v15, v17, v15, s[6:7]
	s_nop 0
	v_mov_b32_dpp v16, v14 row_bcast:31 row_mask:0xf bank_mask:0xf
	v_mov_b32_dpp v17, v15 row_bcast:31 row_mask:0xf bank_mask:0xf
	v_add_f64 v[16:17], v[14:15], v[16:17]
	v_cndmask_b32_e64 v13, v14, v16, s[14:15]
	v_cndmask_b32_e64 v14, v15, v17, s[14:15]
	;; [unrolled: 1-line block ×4, first 2 shown]
	s_and_saveexec_b64 s[16:17], s[10:11]
	s_cbranch_execz .LBB14_1
; %bb.3:                                ;   in Loop: Header=BB14_2 Depth=1
	ds_write_b64 v11, v[0:1]
	s_branch .LBB14_1
.LBB14_4:
	v_mov_b32_e32 v0, s18
	v_mov_b32_e32 v1, s19
	v_lshl_add_u64 v[0:1], v[10:11], 3, v[0:1]
	global_store_dwordx4 v[0:1], v[6:9], off
	global_store_dwordx4 v[0:1], v[2:5], off offset:16
	s_endpgm
	.section	.rodata,"a",@progbits
	.p2align	6, 0x0
	.amdhsa_kernel _Z6kernelI14inclusive_scanILN6hipcub18BlockScanAlgorithmE1EEdLj64ELj4ELj100EEvPKT0_PS4_S4_
		.amdhsa_group_segment_fixed_size 8
		.amdhsa_private_segment_fixed_size 0
		.amdhsa_kernarg_size 280
		.amdhsa_user_sgpr_count 2
		.amdhsa_user_sgpr_dispatch_ptr 0
		.amdhsa_user_sgpr_queue_ptr 0
		.amdhsa_user_sgpr_kernarg_segment_ptr 1
		.amdhsa_user_sgpr_dispatch_id 0
		.amdhsa_user_sgpr_kernarg_preload_length 0
		.amdhsa_user_sgpr_kernarg_preload_offset 0
		.amdhsa_user_sgpr_private_segment_size 0
		.amdhsa_uses_dynamic_stack 0
		.amdhsa_enable_private_segment 0
		.amdhsa_system_sgpr_workgroup_id_x 1
		.amdhsa_system_sgpr_workgroup_id_y 0
		.amdhsa_system_sgpr_workgroup_id_z 0
		.amdhsa_system_sgpr_workgroup_info 0
		.amdhsa_system_vgpr_workitem_id 0
		.amdhsa_next_free_vgpr 18
		.amdhsa_next_free_sgpr 21
		.amdhsa_accum_offset 20
		.amdhsa_reserve_vcc 1
		.amdhsa_float_round_mode_32 0
		.amdhsa_float_round_mode_16_64 0
		.amdhsa_float_denorm_mode_32 3
		.amdhsa_float_denorm_mode_16_64 3
		.amdhsa_dx10_clamp 1
		.amdhsa_ieee_mode 1
		.amdhsa_fp16_overflow 0
		.amdhsa_tg_split 0
		.amdhsa_exception_fp_ieee_invalid_op 0
		.amdhsa_exception_fp_denorm_src 0
		.amdhsa_exception_fp_ieee_div_zero 0
		.amdhsa_exception_fp_ieee_overflow 0
		.amdhsa_exception_fp_ieee_underflow 0
		.amdhsa_exception_fp_ieee_inexact 0
		.amdhsa_exception_int_div_zero 0
	.end_amdhsa_kernel
	.section	.text._Z6kernelI14inclusive_scanILN6hipcub18BlockScanAlgorithmE1EEdLj64ELj4ELj100EEvPKT0_PS4_S4_,"axG",@progbits,_Z6kernelI14inclusive_scanILN6hipcub18BlockScanAlgorithmE1EEdLj64ELj4ELj100EEvPKT0_PS4_S4_,comdat
.Lfunc_end14:
	.size	_Z6kernelI14inclusive_scanILN6hipcub18BlockScanAlgorithmE1EEdLj64ELj4ELj100EEvPKT0_PS4_S4_, .Lfunc_end14-_Z6kernelI14inclusive_scanILN6hipcub18BlockScanAlgorithmE1EEdLj64ELj4ELj100EEvPKT0_PS4_S4_
                                        ; -- End function
	.section	.AMDGPU.csdata,"",@progbits
; Kernel info:
; codeLenInByte = 648
; NumSgprs: 27
; NumVgprs: 18
; NumAgprs: 0
; TotalNumVgprs: 18
; ScratchSize: 0
; MemoryBound: 0
; FloatMode: 240
; IeeeMode: 1
; LDSByteSize: 8 bytes/workgroup (compile time only)
; SGPRBlocks: 3
; VGPRBlocks: 2
; NumSGPRsForWavesPerEU: 27
; NumVGPRsForWavesPerEU: 18
; AccumOffset: 20
; Occupancy: 8
; WaveLimiterHint : 0
; COMPUTE_PGM_RSRC2:SCRATCH_EN: 0
; COMPUTE_PGM_RSRC2:USER_SGPR: 2
; COMPUTE_PGM_RSRC2:TRAP_HANDLER: 0
; COMPUTE_PGM_RSRC2:TGID_X_EN: 1
; COMPUTE_PGM_RSRC2:TGID_Y_EN: 0
; COMPUTE_PGM_RSRC2:TGID_Z_EN: 0
; COMPUTE_PGM_RSRC2:TIDIG_COMP_CNT: 0
; COMPUTE_PGM_RSRC3_GFX90A:ACCUM_OFFSET: 4
; COMPUTE_PGM_RSRC3_GFX90A:TG_SPLIT: 0
	.section	.text._Z6kernelI14inclusive_scanILN6hipcub18BlockScanAlgorithmE1EEdLj64ELj8ELj100EEvPKT0_PS4_S4_,"axG",@progbits,_Z6kernelI14inclusive_scanILN6hipcub18BlockScanAlgorithmE1EEdLj64ELj8ELj100EEvPKT0_PS4_S4_,comdat
	.protected	_Z6kernelI14inclusive_scanILN6hipcub18BlockScanAlgorithmE1EEdLj64ELj8ELj100EEvPKT0_PS4_S4_ ; -- Begin function _Z6kernelI14inclusive_scanILN6hipcub18BlockScanAlgorithmE1EEdLj64ELj8ELj100EEvPKT0_PS4_S4_
	.globl	_Z6kernelI14inclusive_scanILN6hipcub18BlockScanAlgorithmE1EEdLj64ELj8ELj100EEvPKT0_PS4_S4_
	.p2align	8
	.type	_Z6kernelI14inclusive_scanILN6hipcub18BlockScanAlgorithmE1EEdLj64ELj8ELj100EEvPKT0_PS4_S4_,@function
_Z6kernelI14inclusive_scanILN6hipcub18BlockScanAlgorithmE1EEdLj64ELj8ELj100EEvPKT0_PS4_S4_: ; @_Z6kernelI14inclusive_scanILN6hipcub18BlockScanAlgorithmE1EEdLj64ELj8ELj100EEvPKT0_PS4_S4_
; %bb.0:
	s_load_dwordx4 s[16:19], s[0:1], 0x0
	s_load_dword s3, s[0:1], 0x24
	v_mov_b32_e32 v19, 0
	v_mbcnt_lo_u32_b32 v1, -1, 0
	v_mbcnt_hi_u32_b32 v1, -1, v1
	s_waitcnt lgkmcnt(0)
	v_mov_b32_e32 v2, s16
	s_and_b32 s0, s3, 0xffff
	s_mul_i32 s2, s2, s0
	v_mov_b32_e32 v3, s17
	v_add_lshl_u32 v18, s2, v0, 3
	v_lshl_add_u64 v[20:21], v[18:19], 3, v[2:3]
	global_load_dwordx4 v[2:5], v[20:21], off offset:48
	global_load_dwordx4 v[6:9], v[20:21], off offset:32
	;; [unrolled: 1-line block ×3, first 2 shown]
	global_load_dwordx4 v[14:17], v[20:21], off
	v_and_b32_e32 v20, 15, v1
	v_cmp_eq_u32_e32 vcc, 0, v20
	v_cmp_lt_u32_e64 s[0:1], 1, v20
	v_cmp_lt_u32_e64 s[2:3], 3, v20
	;; [unrolled: 1-line block ×3, first 2 shown]
	v_and_b32_e32 v20, 16, v1
	v_cmp_eq_u32_e64 s[6:7], 0, v20
	v_add_u32_e32 v20, -1, v1
	v_and_b32_e32 v21, 64, v1
	v_cmp_lt_i32_e64 s[12:13], v20, v21
	v_cmp_eq_u32_e64 s[8:9], 0, v1
	v_cmp_eq_u32_e64 s[10:11], 63, v0
	v_cndmask_b32_e64 v20, v20, v1, s[12:13]
	v_lshlrev_b32_e32 v20, 2, v20
	v_cmp_eq_u32_e64 s[12:13], 0, v0
	v_cmp_lt_u32_e64 s[14:15], 31, v1
	s_movk_i32 s20, 0x64
	s_branch .LBB15_2
.LBB15_1:                               ;   in Loop: Header=BB15_2 Depth=1
	s_or_b64 exec, exec, s[16:17]
	ds_bpermute_b32 v0, v20, v0
	ds_bpermute_b32 v1, v20, v1
	s_add_i32 s20, s20, -1
	s_cmp_lg_u32 s20, 0
	s_waitcnt lgkmcnt(0)
	; wave barrier
	s_waitcnt lgkmcnt(0)
	v_add_f64 v[0:1], v[14:15], v[0:1]
	v_cndmask_b32_e64 v15, v1, v15, s[12:13]
	v_cndmask_b32_e64 v14, v0, v14, s[12:13]
	v_add_f64 v[16:17], v[16:17], v[14:15]
	v_add_f64 v[10:11], v[10:11], v[16:17]
	;; [unrolled: 1-line block ×7, first 2 shown]
	s_cbranch_scc0 .LBB15_4
.LBB15_2:                               ; =>This Inner Loop Header: Depth=1
	s_waitcnt vmcnt(0)
	v_add_f64 v[0:1], v[16:17], v[14:15]
	v_add_f64 v[0:1], v[10:11], v[0:1]
	v_add_f64 v[0:1], v[12:13], v[0:1]
	v_add_f64 v[0:1], v[6:7], v[0:1]
	v_add_f64 v[0:1], v[8:9], v[0:1]
	v_add_f64 v[0:1], v[2:3], v[0:1]
	v_add_f64 v[0:1], v[4:5], v[0:1]
	s_nop 1
	v_mov_b32_dpp v22, v0 row_shr:1 row_mask:0xf bank_mask:0xf
	v_mov_b32_dpp v23, v1 row_shr:1 row_mask:0xf bank_mask:0xf
	v_add_f64 v[22:23], v[0:1], v[22:23]
	v_cndmask_b32_e32 v22, v22, v0, vcc
	v_cndmask_b32_e32 v23, v23, v1, vcc
	s_nop 0
	v_mov_b32_dpp v24, v22 row_shr:2 row_mask:0xf bank_mask:0xf
	v_mov_b32_dpp v25, v23 row_shr:2 row_mask:0xf bank_mask:0xf
	v_add_f64 v[24:25], v[22:23], v[24:25]
	v_cndmask_b32_e64 v22, v22, v24, s[0:1]
	v_cndmask_b32_e64 v23, v23, v25, s[0:1]
	s_nop 0
	v_mov_b32_dpp v24, v22 row_shr:4 row_mask:0xf bank_mask:0xf
	v_mov_b32_dpp v25, v23 row_shr:4 row_mask:0xf bank_mask:0xf
	v_add_f64 v[24:25], v[22:23], v[24:25]
	v_cndmask_b32_e64 v22, v22, v24, s[2:3]
	v_cndmask_b32_e64 v23, v23, v25, s[2:3]
	;; [unrolled: 6-line block ×3, first 2 shown]
	s_nop 0
	v_mov_b32_dpp v24, v22 row_bcast:15 row_mask:0xf bank_mask:0xf
	v_mov_b32_dpp v25, v23 row_bcast:15 row_mask:0xf bank_mask:0xf
	v_add_f64 v[24:25], v[22:23], v[24:25]
	v_cndmask_b32_e64 v22, v24, v22, s[6:7]
	v_cndmask_b32_e64 v23, v25, v23, s[6:7]
	s_nop 0
	v_mov_b32_dpp v24, v22 row_bcast:31 row_mask:0xf bank_mask:0xf
	v_mov_b32_dpp v25, v23 row_bcast:31 row_mask:0xf bank_mask:0xf
	v_add_f64 v[24:25], v[22:23], v[24:25]
	v_cndmask_b32_e64 v21, v22, v24, s[14:15]
	v_cndmask_b32_e64 v22, v23, v25, s[14:15]
	;; [unrolled: 1-line block ×4, first 2 shown]
	s_and_saveexec_b64 s[16:17], s[10:11]
	s_cbranch_execz .LBB15_1
; %bb.3:                                ;   in Loop: Header=BB15_2 Depth=1
	ds_write_b64 v19, v[0:1]
	s_branch .LBB15_1
.LBB15_4:
	v_mov_b32_e32 v0, s18
	v_mov_b32_e32 v1, s19
	v_lshl_add_u64 v[0:1], v[18:19], 3, v[0:1]
	global_store_dwordx4 v[0:1], v[14:17], off
	global_store_dwordx4 v[0:1], v[10:13], off offset:16
	global_store_dwordx4 v[0:1], v[6:9], off offset:32
	;; [unrolled: 1-line block ×3, first 2 shown]
	s_endpgm
	.section	.rodata,"a",@progbits
	.p2align	6, 0x0
	.amdhsa_kernel _Z6kernelI14inclusive_scanILN6hipcub18BlockScanAlgorithmE1EEdLj64ELj8ELj100EEvPKT0_PS4_S4_
		.amdhsa_group_segment_fixed_size 8
		.amdhsa_private_segment_fixed_size 0
		.amdhsa_kernarg_size 280
		.amdhsa_user_sgpr_count 2
		.amdhsa_user_sgpr_dispatch_ptr 0
		.amdhsa_user_sgpr_queue_ptr 0
		.amdhsa_user_sgpr_kernarg_segment_ptr 1
		.amdhsa_user_sgpr_dispatch_id 0
		.amdhsa_user_sgpr_kernarg_preload_length 0
		.amdhsa_user_sgpr_kernarg_preload_offset 0
		.amdhsa_user_sgpr_private_segment_size 0
		.amdhsa_uses_dynamic_stack 0
		.amdhsa_enable_private_segment 0
		.amdhsa_system_sgpr_workgroup_id_x 1
		.amdhsa_system_sgpr_workgroup_id_y 0
		.amdhsa_system_sgpr_workgroup_id_z 0
		.amdhsa_system_sgpr_workgroup_info 0
		.amdhsa_system_vgpr_workitem_id 0
		.amdhsa_next_free_vgpr 26
		.amdhsa_next_free_sgpr 21
		.amdhsa_accum_offset 28
		.amdhsa_reserve_vcc 1
		.amdhsa_float_round_mode_32 0
		.amdhsa_float_round_mode_16_64 0
		.amdhsa_float_denorm_mode_32 3
		.amdhsa_float_denorm_mode_16_64 3
		.amdhsa_dx10_clamp 1
		.amdhsa_ieee_mode 1
		.amdhsa_fp16_overflow 0
		.amdhsa_tg_split 0
		.amdhsa_exception_fp_ieee_invalid_op 0
		.amdhsa_exception_fp_denorm_src 0
		.amdhsa_exception_fp_ieee_div_zero 0
		.amdhsa_exception_fp_ieee_overflow 0
		.amdhsa_exception_fp_ieee_underflow 0
		.amdhsa_exception_fp_ieee_inexact 0
		.amdhsa_exception_int_div_zero 0
	.end_amdhsa_kernel
	.section	.text._Z6kernelI14inclusive_scanILN6hipcub18BlockScanAlgorithmE1EEdLj64ELj8ELj100EEvPKT0_PS4_S4_,"axG",@progbits,_Z6kernelI14inclusive_scanILN6hipcub18BlockScanAlgorithmE1EEdLj64ELj8ELj100EEvPKT0_PS4_S4_,comdat
.Lfunc_end15:
	.size	_Z6kernelI14inclusive_scanILN6hipcub18BlockScanAlgorithmE1EEdLj64ELj8ELj100EEvPKT0_PS4_S4_, .Lfunc_end15-_Z6kernelI14inclusive_scanILN6hipcub18BlockScanAlgorithmE1EEdLj64ELj8ELj100EEvPKT0_PS4_S4_
                                        ; -- End function
	.section	.AMDGPU.csdata,"",@progbits
; Kernel info:
; codeLenInByte = 744
; NumSgprs: 27
; NumVgprs: 26
; NumAgprs: 0
; TotalNumVgprs: 26
; ScratchSize: 0
; MemoryBound: 0
; FloatMode: 240
; IeeeMode: 1
; LDSByteSize: 8 bytes/workgroup (compile time only)
; SGPRBlocks: 3
; VGPRBlocks: 3
; NumSGPRsForWavesPerEU: 27
; NumVGPRsForWavesPerEU: 26
; AccumOffset: 28
; Occupancy: 8
; WaveLimiterHint : 0
; COMPUTE_PGM_RSRC2:SCRATCH_EN: 0
; COMPUTE_PGM_RSRC2:USER_SGPR: 2
; COMPUTE_PGM_RSRC2:TRAP_HANDLER: 0
; COMPUTE_PGM_RSRC2:TGID_X_EN: 1
; COMPUTE_PGM_RSRC2:TGID_Y_EN: 0
; COMPUTE_PGM_RSRC2:TGID_Z_EN: 0
; COMPUTE_PGM_RSRC2:TIDIG_COMP_CNT: 0
; COMPUTE_PGM_RSRC3_GFX90A:ACCUM_OFFSET: 6
; COMPUTE_PGM_RSRC3_GFX90A:TG_SPLIT: 0
	.section	.text._Z6kernelI14inclusive_scanILN6hipcub18BlockScanAlgorithmE1EEdLj64ELj11ELj100EEvPKT0_PS4_S4_,"axG",@progbits,_Z6kernelI14inclusive_scanILN6hipcub18BlockScanAlgorithmE1EEdLj64ELj11ELj100EEvPKT0_PS4_S4_,comdat
	.protected	_Z6kernelI14inclusive_scanILN6hipcub18BlockScanAlgorithmE1EEdLj64ELj11ELj100EEvPKT0_PS4_S4_ ; -- Begin function _Z6kernelI14inclusive_scanILN6hipcub18BlockScanAlgorithmE1EEdLj64ELj11ELj100EEvPKT0_PS4_S4_
	.globl	_Z6kernelI14inclusive_scanILN6hipcub18BlockScanAlgorithmE1EEdLj64ELj11ELj100EEvPKT0_PS4_S4_
	.p2align	8
	.type	_Z6kernelI14inclusive_scanILN6hipcub18BlockScanAlgorithmE1EEdLj64ELj11ELj100EEvPKT0_PS4_S4_,@function
_Z6kernelI14inclusive_scanILN6hipcub18BlockScanAlgorithmE1EEdLj64ELj11ELj100EEvPKT0_PS4_S4_: ; @_Z6kernelI14inclusive_scanILN6hipcub18BlockScanAlgorithmE1EEdLj64ELj11ELj100EEvPKT0_PS4_S4_
; %bb.0:
	s_load_dword s3, s[0:1], 0x24
	s_load_dwordx4 s[16:19], s[0:1], 0x0
	v_mov_b32_e32 v3, 0
	v_mov_b32_e32 v5, v3
	;; [unrolled: 1-line block ×3, first 2 shown]
	s_waitcnt lgkmcnt(0)
	s_and_b32 s0, s3, 0xffff
	s_mul_i32 s2, s2, s0
	v_add_u32_e32 v1, s2, v0
	v_mul_lo_u32 v2, v1, 11
	v_lshl_add_u64 v[18:19], v[2:3], 3, s[16:17]
	v_add_u32_e32 v4, 1, v2
	v_add_u32_e32 v6, 2, v2
	;; [unrolled: 1-line block ×3, first 2 shown]
	v_mov_b32_e32 v9, v3
	v_lshl_add_u64 v[20:21], v[4:5], 3, s[16:17]
	v_lshl_add_u64 v[22:23], v[6:7], 3, s[16:17]
	;; [unrolled: 1-line block ×3, first 2 shown]
	global_load_dwordx2 v[16:17], v[18:19], off
	global_load_dwordx2 v[14:15], v[20:21], off
	;; [unrolled: 1-line block ×4, first 2 shown]
	v_add_u32_e32 v18, 4, v2
	v_mov_b32_e32 v19, v3
	v_lshl_add_u64 v[34:35], v[18:19], 3, s[16:17]
	v_add_u32_e32 v20, 5, v2
	v_mov_b32_e32 v21, v3
	v_add_u32_e32 v22, 6, v2
	v_mov_b32_e32 v23, v3
	;; [unrolled: 2-line block ×3, first 2 shown]
	v_lshl_add_u64 v[36:37], v[20:21], 3, s[16:17]
	v_lshl_add_u64 v[38:39], v[22:23], 3, s[16:17]
	v_lshl_add_u64 v[40:41], v[24:25], 3, s[16:17]
	global_load_dwordx2 v[32:33], v[34:35], off
	global_load_dwordx2 v[30:31], v[36:37], off
	;; [unrolled: 1-line block ×4, first 2 shown]
	v_add_u32_e32 v34, 8, v2
	v_mov_b32_e32 v35, v3
	v_lshl_add_u64 v[46:47], v[34:35], 3, s[16:17]
	v_add_u32_e32 v36, 9, v2
	v_mov_b32_e32 v37, v3
	v_add_u32_e32 v38, 10, v2
	v_mov_b32_e32 v39, v3
	v_lshl_add_u64 v[48:49], v[36:37], 3, s[16:17]
	v_lshl_add_u64 v[50:51], v[38:39], 3, s[16:17]
	global_load_dwordx2 v[44:45], v[46:47], off
	global_load_dwordx2 v[42:43], v[48:49], off
	;; [unrolled: 1-line block ×3, first 2 shown]
	v_mbcnt_lo_u32_b32 v1, -1, 0
	v_mbcnt_hi_u32_b32 v1, -1, v1
	v_and_b32_e32 v46, 15, v1
	v_cmp_eq_u32_e32 vcc, 0, v46
	v_cmp_lt_u32_e64 s[0:1], 1, v46
	v_cmp_lt_u32_e64 s[2:3], 3, v46
	;; [unrolled: 1-line block ×3, first 2 shown]
	v_and_b32_e32 v46, 16, v1
	v_cmp_eq_u32_e64 s[6:7], 0, v46
	v_add_u32_e32 v46, -1, v1
	v_and_b32_e32 v47, 64, v1
	v_cmp_lt_i32_e64 s[12:13], v46, v47
	v_cmp_eq_u32_e64 s[8:9], 0, v1
	v_cmp_eq_u32_e64 s[10:11], 63, v0
	v_cndmask_b32_e64 v46, v46, v1, s[12:13]
	v_lshlrev_b32_e32 v46, 2, v46
	v_cmp_eq_u32_e64 s[12:13], 0, v0
	v_cmp_lt_u32_e64 s[14:15], 31, v1
	s_movk_i32 s20, 0x64
	s_branch .LBB16_2
.LBB16_1:                               ;   in Loop: Header=BB16_2 Depth=1
	s_or_b64 exec, exec, s[16:17]
	ds_bpermute_b32 v0, v46, v0
	ds_bpermute_b32 v1, v46, v1
	s_add_i32 s20, s20, -1
	s_cmp_lg_u32 s20, 0
	s_waitcnt lgkmcnt(0)
	; wave barrier
	s_waitcnt lgkmcnt(0)
	v_add_f64 v[0:1], v[16:17], v[0:1]
	v_cndmask_b32_e64 v17, v1, v17, s[12:13]
	v_cndmask_b32_e64 v16, v0, v16, s[12:13]
	v_add_f64 v[14:15], v[14:15], v[16:17]
	v_add_f64 v[12:13], v[12:13], v[14:15]
	;; [unrolled: 1-line block ×10, first 2 shown]
	s_cbranch_scc0 .LBB16_4
.LBB16_2:                               ; =>This Inner Loop Header: Depth=1
	s_waitcnt vmcnt(9)
	v_add_f64 v[0:1], v[14:15], v[16:17]
	s_waitcnt vmcnt(8)
	v_add_f64 v[0:1], v[12:13], v[0:1]
	s_waitcnt vmcnt(7)
	v_add_f64 v[0:1], v[10:11], v[0:1]
	s_waitcnt vmcnt(6)
	v_add_f64 v[0:1], v[32:33], v[0:1]
	s_waitcnt vmcnt(5)
	v_add_f64 v[0:1], v[30:31], v[0:1]
	s_waitcnt vmcnt(4)
	v_add_f64 v[0:1], v[28:29], v[0:1]
	s_waitcnt vmcnt(3)
	v_add_f64 v[0:1], v[26:27], v[0:1]
	s_waitcnt vmcnt(2)
	v_add_f64 v[0:1], v[44:45], v[0:1]
	s_waitcnt vmcnt(1)
	v_add_f64 v[0:1], v[42:43], v[0:1]
	s_waitcnt vmcnt(0)
	v_add_f64 v[0:1], v[40:41], v[0:1]
	s_nop 1
	v_mov_b32_dpp v48, v0 row_shr:1 row_mask:0xf bank_mask:0xf
	v_mov_b32_dpp v49, v1 row_shr:1 row_mask:0xf bank_mask:0xf
	v_add_f64 v[48:49], v[0:1], v[48:49]
	v_cndmask_b32_e32 v48, v48, v0, vcc
	v_cndmask_b32_e32 v49, v49, v1, vcc
	s_nop 0
	v_mov_b32_dpp v50, v48 row_shr:2 row_mask:0xf bank_mask:0xf
	v_mov_b32_dpp v51, v49 row_shr:2 row_mask:0xf bank_mask:0xf
	v_add_f64 v[50:51], v[48:49], v[50:51]
	v_cndmask_b32_e64 v48, v48, v50, s[0:1]
	v_cndmask_b32_e64 v49, v49, v51, s[0:1]
	s_nop 0
	v_mov_b32_dpp v50, v48 row_shr:4 row_mask:0xf bank_mask:0xf
	v_mov_b32_dpp v51, v49 row_shr:4 row_mask:0xf bank_mask:0xf
	v_add_f64 v[50:51], v[48:49], v[50:51]
	v_cndmask_b32_e64 v48, v48, v50, s[2:3]
	v_cndmask_b32_e64 v49, v49, v51, s[2:3]
	;; [unrolled: 6-line block ×3, first 2 shown]
	s_nop 0
	v_mov_b32_dpp v50, v48 row_bcast:15 row_mask:0xf bank_mask:0xf
	v_mov_b32_dpp v51, v49 row_bcast:15 row_mask:0xf bank_mask:0xf
	v_add_f64 v[50:51], v[48:49], v[50:51]
	v_cndmask_b32_e64 v48, v50, v48, s[6:7]
	v_cndmask_b32_e64 v49, v51, v49, s[6:7]
	s_nop 0
	v_mov_b32_dpp v50, v48 row_bcast:31 row_mask:0xf bank_mask:0xf
	v_mov_b32_dpp v51, v49 row_bcast:31 row_mask:0xf bank_mask:0xf
	v_add_f64 v[50:51], v[48:49], v[50:51]
	v_cndmask_b32_e64 v47, v48, v50, s[14:15]
	v_cndmask_b32_e64 v48, v49, v51, s[14:15]
	;; [unrolled: 1-line block ×4, first 2 shown]
	s_and_saveexec_b64 s[16:17], s[10:11]
	s_cbranch_execz .LBB16_1
; %bb.3:                                ;   in Loop: Header=BB16_2 Depth=1
	ds_write_b64 v3, v[0:1]
	s_branch .LBB16_1
.LBB16_4:
	v_lshl_add_u64 v[0:1], v[2:3], 3, s[18:19]
	global_store_dwordx2 v[0:1], v[16:17], off
	v_lshl_add_u64 v[0:1], v[4:5], 3, s[18:19]
	global_store_dwordx2 v[0:1], v[14:15], off
	;; [unrolled: 2-line block ×11, first 2 shown]
	s_endpgm
	.section	.rodata,"a",@progbits
	.p2align	6, 0x0
	.amdhsa_kernel _Z6kernelI14inclusive_scanILN6hipcub18BlockScanAlgorithmE1EEdLj64ELj11ELj100EEvPKT0_PS4_S4_
		.amdhsa_group_segment_fixed_size 8
		.amdhsa_private_segment_fixed_size 0
		.amdhsa_kernarg_size 280
		.amdhsa_user_sgpr_count 2
		.amdhsa_user_sgpr_dispatch_ptr 0
		.amdhsa_user_sgpr_queue_ptr 0
		.amdhsa_user_sgpr_kernarg_segment_ptr 1
		.amdhsa_user_sgpr_dispatch_id 0
		.amdhsa_user_sgpr_kernarg_preload_length 0
		.amdhsa_user_sgpr_kernarg_preload_offset 0
		.amdhsa_user_sgpr_private_segment_size 0
		.amdhsa_uses_dynamic_stack 0
		.amdhsa_enable_private_segment 0
		.amdhsa_system_sgpr_workgroup_id_x 1
		.amdhsa_system_sgpr_workgroup_id_y 0
		.amdhsa_system_sgpr_workgroup_id_z 0
		.amdhsa_system_sgpr_workgroup_info 0
		.amdhsa_system_vgpr_workitem_id 0
		.amdhsa_next_free_vgpr 52
		.amdhsa_next_free_sgpr 21
		.amdhsa_accum_offset 52
		.amdhsa_reserve_vcc 1
		.amdhsa_float_round_mode_32 0
		.amdhsa_float_round_mode_16_64 0
		.amdhsa_float_denorm_mode_32 3
		.amdhsa_float_denorm_mode_16_64 3
		.amdhsa_dx10_clamp 1
		.amdhsa_ieee_mode 1
		.amdhsa_fp16_overflow 0
		.amdhsa_tg_split 0
		.amdhsa_exception_fp_ieee_invalid_op 0
		.amdhsa_exception_fp_denorm_src 0
		.amdhsa_exception_fp_ieee_div_zero 0
		.amdhsa_exception_fp_ieee_overflow 0
		.amdhsa_exception_fp_ieee_underflow 0
		.amdhsa_exception_fp_ieee_inexact 0
		.amdhsa_exception_int_div_zero 0
	.end_amdhsa_kernel
	.section	.text._Z6kernelI14inclusive_scanILN6hipcub18BlockScanAlgorithmE1EEdLj64ELj11ELj100EEvPKT0_PS4_S4_,"axG",@progbits,_Z6kernelI14inclusive_scanILN6hipcub18BlockScanAlgorithmE1EEdLj64ELj11ELj100EEvPKT0_PS4_S4_,comdat
.Lfunc_end16:
	.size	_Z6kernelI14inclusive_scanILN6hipcub18BlockScanAlgorithmE1EEdLj64ELj11ELj100EEvPKT0_PS4_S4_, .Lfunc_end16-_Z6kernelI14inclusive_scanILN6hipcub18BlockScanAlgorithmE1EEdLj64ELj11ELj100EEvPKT0_PS4_S4_
                                        ; -- End function
	.section	.AMDGPU.csdata,"",@progbits
; Kernel info:
; codeLenInByte = 1168
; NumSgprs: 27
; NumVgprs: 52
; NumAgprs: 0
; TotalNumVgprs: 52
; ScratchSize: 0
; MemoryBound: 0
; FloatMode: 240
; IeeeMode: 1
; LDSByteSize: 8 bytes/workgroup (compile time only)
; SGPRBlocks: 3
; VGPRBlocks: 6
; NumSGPRsForWavesPerEU: 27
; NumVGPRsForWavesPerEU: 52
; AccumOffset: 52
; Occupancy: 8
; WaveLimiterHint : 0
; COMPUTE_PGM_RSRC2:SCRATCH_EN: 0
; COMPUTE_PGM_RSRC2:USER_SGPR: 2
; COMPUTE_PGM_RSRC2:TRAP_HANDLER: 0
; COMPUTE_PGM_RSRC2:TGID_X_EN: 1
; COMPUTE_PGM_RSRC2:TGID_Y_EN: 0
; COMPUTE_PGM_RSRC2:TGID_Z_EN: 0
; COMPUTE_PGM_RSRC2:TIDIG_COMP_CNT: 0
; COMPUTE_PGM_RSRC3_GFX90A:ACCUM_OFFSET: 12
; COMPUTE_PGM_RSRC3_GFX90A:TG_SPLIT: 0
	.section	.text._Z6kernelI14inclusive_scanILN6hipcub18BlockScanAlgorithmE1EEdLj64ELj16ELj100EEvPKT0_PS4_S4_,"axG",@progbits,_Z6kernelI14inclusive_scanILN6hipcub18BlockScanAlgorithmE1EEdLj64ELj16ELj100EEvPKT0_PS4_S4_,comdat
	.protected	_Z6kernelI14inclusive_scanILN6hipcub18BlockScanAlgorithmE1EEdLj64ELj16ELj100EEvPKT0_PS4_S4_ ; -- Begin function _Z6kernelI14inclusive_scanILN6hipcub18BlockScanAlgorithmE1EEdLj64ELj16ELj100EEvPKT0_PS4_S4_
	.globl	_Z6kernelI14inclusive_scanILN6hipcub18BlockScanAlgorithmE1EEdLj64ELj16ELj100EEvPKT0_PS4_S4_
	.p2align	8
	.type	_Z6kernelI14inclusive_scanILN6hipcub18BlockScanAlgorithmE1EEdLj64ELj16ELj100EEvPKT0_PS4_S4_,@function
_Z6kernelI14inclusive_scanILN6hipcub18BlockScanAlgorithmE1EEdLj64ELj16ELj100EEvPKT0_PS4_S4_: ; @_Z6kernelI14inclusive_scanILN6hipcub18BlockScanAlgorithmE1EEdLj64ELj16ELj100EEvPKT0_PS4_S4_
; %bb.0:
	s_load_dwordx4 s[16:19], s[0:1], 0x0
	s_load_dword s3, s[0:1], 0x24
	v_mov_b32_e32 v35, 0
	v_mbcnt_lo_u32_b32 v1, -1, 0
	v_mbcnt_hi_u32_b32 v1, -1, v1
	s_waitcnt lgkmcnt(0)
	v_mov_b32_e32 v2, s16
	s_and_b32 s0, s3, 0xffff
	s_mul_i32 s2, s2, s0
	v_mov_b32_e32 v3, s17
	v_add_lshl_u32 v34, s2, v0, 4
	v_lshl_add_u64 v[36:37], v[34:35], 3, v[2:3]
	global_load_dwordx4 v[2:5], v[36:37], off offset:48
	global_load_dwordx4 v[10:13], v[36:37], off offset:32
	;; [unrolled: 1-line block ×3, first 2 shown]
	global_load_dwordx4 v[26:29], v[36:37], off
	global_load_dwordx4 v[6:9], v[36:37], off offset:112
	global_load_dwordx4 v[14:17], v[36:37], off offset:96
	;; [unrolled: 1-line block ×4, first 2 shown]
	v_and_b32_e32 v36, 15, v1
	v_cmp_eq_u32_e32 vcc, 0, v36
	v_cmp_lt_u32_e64 s[0:1], 1, v36
	v_cmp_lt_u32_e64 s[2:3], 3, v36
	;; [unrolled: 1-line block ×3, first 2 shown]
	v_and_b32_e32 v36, 16, v1
	v_cmp_eq_u32_e64 s[6:7], 0, v36
	v_add_u32_e32 v36, -1, v1
	v_and_b32_e32 v37, 64, v1
	v_cmp_lt_i32_e64 s[12:13], v36, v37
	v_cmp_eq_u32_e64 s[8:9], 0, v1
	v_cmp_eq_u32_e64 s[10:11], 63, v0
	v_cndmask_b32_e64 v36, v36, v1, s[12:13]
	v_lshlrev_b32_e32 v36, 2, v36
	v_cmp_eq_u32_e64 s[12:13], 0, v0
	v_cmp_lt_u32_e64 s[14:15], 31, v1
	s_movk_i32 s20, 0x64
	s_branch .LBB17_2
.LBB17_1:                               ;   in Loop: Header=BB17_2 Depth=1
	s_or_b64 exec, exec, s[16:17]
	ds_bpermute_b32 v0, v36, v0
	ds_bpermute_b32 v1, v36, v1
	s_add_i32 s20, s20, -1
	s_cmp_lg_u32 s20, 0
	s_waitcnt lgkmcnt(0)
	; wave barrier
	s_waitcnt lgkmcnt(0)
	v_add_f64 v[0:1], v[26:27], v[0:1]
	v_cndmask_b32_e64 v27, v1, v27, s[12:13]
	v_cndmask_b32_e64 v26, v0, v26, s[12:13]
	v_add_f64 v[28:29], v[28:29], v[26:27]
	v_add_f64 v[18:19], v[18:19], v[28:29]
	;; [unrolled: 1-line block ×15, first 2 shown]
	s_cbranch_scc0 .LBB17_4
.LBB17_2:                               ; =>This Inner Loop Header: Depth=1
	s_waitcnt vmcnt(4)
	v_add_f64 v[0:1], v[28:29], v[26:27]
	v_add_f64 v[0:1], v[18:19], v[0:1]
	;; [unrolled: 1-line block ×7, first 2 shown]
	s_waitcnt vmcnt(0)
	v_add_f64 v[0:1], v[30:31], v[0:1]
	v_add_f64 v[0:1], v[32:33], v[0:1]
	;; [unrolled: 1-line block ×8, first 2 shown]
	s_nop 1
	v_mov_b32_dpp v38, v0 row_shr:1 row_mask:0xf bank_mask:0xf
	v_mov_b32_dpp v39, v1 row_shr:1 row_mask:0xf bank_mask:0xf
	v_add_f64 v[38:39], v[0:1], v[38:39]
	v_cndmask_b32_e32 v38, v38, v0, vcc
	v_cndmask_b32_e32 v39, v39, v1, vcc
	s_nop 0
	v_mov_b32_dpp v40, v38 row_shr:2 row_mask:0xf bank_mask:0xf
	v_mov_b32_dpp v41, v39 row_shr:2 row_mask:0xf bank_mask:0xf
	v_add_f64 v[40:41], v[38:39], v[40:41]
	v_cndmask_b32_e64 v38, v38, v40, s[0:1]
	v_cndmask_b32_e64 v39, v39, v41, s[0:1]
	s_nop 0
	v_mov_b32_dpp v40, v38 row_shr:4 row_mask:0xf bank_mask:0xf
	v_mov_b32_dpp v41, v39 row_shr:4 row_mask:0xf bank_mask:0xf
	v_add_f64 v[40:41], v[38:39], v[40:41]
	v_cndmask_b32_e64 v38, v38, v40, s[2:3]
	v_cndmask_b32_e64 v39, v39, v41, s[2:3]
	;; [unrolled: 6-line block ×3, first 2 shown]
	s_nop 0
	v_mov_b32_dpp v40, v38 row_bcast:15 row_mask:0xf bank_mask:0xf
	v_mov_b32_dpp v41, v39 row_bcast:15 row_mask:0xf bank_mask:0xf
	v_add_f64 v[40:41], v[38:39], v[40:41]
	v_cndmask_b32_e64 v38, v40, v38, s[6:7]
	v_cndmask_b32_e64 v39, v41, v39, s[6:7]
	s_nop 0
	v_mov_b32_dpp v40, v38 row_bcast:31 row_mask:0xf bank_mask:0xf
	v_mov_b32_dpp v41, v39 row_bcast:31 row_mask:0xf bank_mask:0xf
	v_add_f64 v[40:41], v[38:39], v[40:41]
	v_cndmask_b32_e64 v37, v38, v40, s[14:15]
	v_cndmask_b32_e64 v38, v39, v41, s[14:15]
	;; [unrolled: 1-line block ×4, first 2 shown]
	s_and_saveexec_b64 s[16:17], s[10:11]
	s_cbranch_execz .LBB17_1
; %bb.3:                                ;   in Loop: Header=BB17_2 Depth=1
	ds_write_b64 v35, v[0:1]
	s_branch .LBB17_1
.LBB17_4:
	v_mov_b32_e32 v0, s18
	v_mov_b32_e32 v1, s19
	v_lshl_add_u64 v[0:1], v[34:35], 3, v[0:1]
	global_store_dwordx4 v[0:1], v[26:29], off
	global_store_dwordx4 v[0:1], v[18:21], off offset:16
	global_store_dwordx4 v[0:1], v[10:13], off offset:32
	;; [unrolled: 1-line block ×7, first 2 shown]
	s_endpgm
	.section	.rodata,"a",@progbits
	.p2align	6, 0x0
	.amdhsa_kernel _Z6kernelI14inclusive_scanILN6hipcub18BlockScanAlgorithmE1EEdLj64ELj16ELj100EEvPKT0_PS4_S4_
		.amdhsa_group_segment_fixed_size 8
		.amdhsa_private_segment_fixed_size 0
		.amdhsa_kernarg_size 280
		.amdhsa_user_sgpr_count 2
		.amdhsa_user_sgpr_dispatch_ptr 0
		.amdhsa_user_sgpr_queue_ptr 0
		.amdhsa_user_sgpr_kernarg_segment_ptr 1
		.amdhsa_user_sgpr_dispatch_id 0
		.amdhsa_user_sgpr_kernarg_preload_length 0
		.amdhsa_user_sgpr_kernarg_preload_offset 0
		.amdhsa_user_sgpr_private_segment_size 0
		.amdhsa_uses_dynamic_stack 0
		.amdhsa_enable_private_segment 0
		.amdhsa_system_sgpr_workgroup_id_x 1
		.amdhsa_system_sgpr_workgroup_id_y 0
		.amdhsa_system_sgpr_workgroup_id_z 0
		.amdhsa_system_sgpr_workgroup_info 0
		.amdhsa_system_vgpr_workitem_id 0
		.amdhsa_next_free_vgpr 42
		.amdhsa_next_free_sgpr 21
		.amdhsa_accum_offset 44
		.amdhsa_reserve_vcc 1
		.amdhsa_float_round_mode_32 0
		.amdhsa_float_round_mode_16_64 0
		.amdhsa_float_denorm_mode_32 3
		.amdhsa_float_denorm_mode_16_64 3
		.amdhsa_dx10_clamp 1
		.amdhsa_ieee_mode 1
		.amdhsa_fp16_overflow 0
		.amdhsa_tg_split 0
		.amdhsa_exception_fp_ieee_invalid_op 0
		.amdhsa_exception_fp_denorm_src 0
		.amdhsa_exception_fp_ieee_div_zero 0
		.amdhsa_exception_fp_ieee_overflow 0
		.amdhsa_exception_fp_ieee_underflow 0
		.amdhsa_exception_fp_ieee_inexact 0
		.amdhsa_exception_int_div_zero 0
	.end_amdhsa_kernel
	.section	.text._Z6kernelI14inclusive_scanILN6hipcub18BlockScanAlgorithmE1EEdLj64ELj16ELj100EEvPKT0_PS4_S4_,"axG",@progbits,_Z6kernelI14inclusive_scanILN6hipcub18BlockScanAlgorithmE1EEdLj64ELj16ELj100EEvPKT0_PS4_S4_,comdat
.Lfunc_end17:
	.size	_Z6kernelI14inclusive_scanILN6hipcub18BlockScanAlgorithmE1EEdLj64ELj16ELj100EEvPKT0_PS4_S4_, .Lfunc_end17-_Z6kernelI14inclusive_scanILN6hipcub18BlockScanAlgorithmE1EEdLj64ELj16ELj100EEvPKT0_PS4_S4_
                                        ; -- End function
	.section	.AMDGPU.csdata,"",@progbits
; Kernel info:
; codeLenInByte = 940
; NumSgprs: 27
; NumVgprs: 42
; NumAgprs: 0
; TotalNumVgprs: 42
; ScratchSize: 0
; MemoryBound: 1
; FloatMode: 240
; IeeeMode: 1
; LDSByteSize: 8 bytes/workgroup (compile time only)
; SGPRBlocks: 3
; VGPRBlocks: 5
; NumSGPRsForWavesPerEU: 27
; NumVGPRsForWavesPerEU: 42
; AccumOffset: 44
; Occupancy: 8
; WaveLimiterHint : 0
; COMPUTE_PGM_RSRC2:SCRATCH_EN: 0
; COMPUTE_PGM_RSRC2:USER_SGPR: 2
; COMPUTE_PGM_RSRC2:TRAP_HANDLER: 0
; COMPUTE_PGM_RSRC2:TGID_X_EN: 1
; COMPUTE_PGM_RSRC2:TGID_Y_EN: 0
; COMPUTE_PGM_RSRC2:TGID_Z_EN: 0
; COMPUTE_PGM_RSRC2:TIDIG_COMP_CNT: 0
; COMPUTE_PGM_RSRC3_GFX90A:ACCUM_OFFSET: 10
; COMPUTE_PGM_RSRC3_GFX90A:TG_SPLIT: 0
	.section	.text._Z6kernelI14inclusive_scanILN6hipcub18BlockScanAlgorithmE1EEhLj64ELj1ELj100EEvPKT0_PS4_S4_,"axG",@progbits,_Z6kernelI14inclusive_scanILN6hipcub18BlockScanAlgorithmE1EEhLj64ELj1ELj100EEvPKT0_PS4_S4_,comdat
	.protected	_Z6kernelI14inclusive_scanILN6hipcub18BlockScanAlgorithmE1EEhLj64ELj1ELj100EEvPKT0_PS4_S4_ ; -- Begin function _Z6kernelI14inclusive_scanILN6hipcub18BlockScanAlgorithmE1EEhLj64ELj1ELj100EEvPKT0_PS4_S4_
	.globl	_Z6kernelI14inclusive_scanILN6hipcub18BlockScanAlgorithmE1EEhLj64ELj1ELj100EEvPKT0_PS4_S4_
	.p2align	8
	.type	_Z6kernelI14inclusive_scanILN6hipcub18BlockScanAlgorithmE1EEhLj64ELj1ELj100EEvPKT0_PS4_S4_,@function
_Z6kernelI14inclusive_scanILN6hipcub18BlockScanAlgorithmE1EEhLj64ELj1ELj100EEvPKT0_PS4_S4_: ; @_Z6kernelI14inclusive_scanILN6hipcub18BlockScanAlgorithmE1EEhLj64ELj1ELj100EEvPKT0_PS4_S4_
; %bb.0:
	s_load_dword s3, s[0:1], 0x24
	s_load_dwordx4 s[12:15], s[0:1], 0x0
	v_mbcnt_lo_u32_b32 v4, -1, 0
	v_mbcnt_hi_u32_b32 v4, -1, v4
	v_and_b32_e32 v5, 15, v4
	s_waitcnt lgkmcnt(0)
	s_and_b32 s0, s3, 0xffff
	s_mul_i32 s2, s2, s0
	v_add_u32_e32 v2, s2, v0
	global_load_ubyte v1, v2, s[12:13]
	v_cmp_eq_u32_e32 vcc, 0, v5
	v_cmp_lt_u32_e64 s[0:1], 1, v5
	v_cmp_lt_u32_e64 s[2:3], 3, v5
	v_cmp_lt_u32_e64 s[4:5], 7, v5
	v_and_b32_e32 v5, 16, v4
	v_mov_b32_e32 v3, 0
	v_cmp_eq_u32_e64 s[6:7], 0, v5
	v_cmp_lt_u32_e64 s[8:9], 31, v4
	v_cmp_eq_u32_e64 s[10:11], 63, v0
	s_movk_i32 s16, 0x64
	s_branch .LBB18_2
.LBB18_1:                               ;   in Loop: Header=BB18_2 Depth=1
	s_or_b64 exec, exec, s[12:13]
	s_add_i32 s16, s16, -1
	s_cmp_lg_u32 s16, 0
	s_waitcnt lgkmcnt(0)
	; wave barrier
	s_waitcnt lgkmcnt(0)
	s_cbranch_scc0 .LBB18_4
.LBB18_2:                               ; =>This Inner Loop Header: Depth=1
	s_waitcnt vmcnt(0)
	v_and_b32_e32 v0, 0xff, v1
	s_nop 1
	v_mov_b32_dpp v0, v0 row_shr:1 row_mask:0xf bank_mask:0xf
	v_cndmask_b32_e64 v0, v0, 0, vcc
	v_add_u16_e32 v0, v0, v1
	v_and_b32_e32 v1, 0xff, v0
	s_nop 1
	v_mov_b32_dpp v1, v1 row_shr:2 row_mask:0xf bank_mask:0xf
	v_cndmask_b32_e64 v1, 0, v1, s[0:1]
	v_add_u16_e32 v0, v0, v1
	v_and_b32_e32 v1, 0xff, v0
	s_nop 1
	v_mov_b32_dpp v1, v1 row_shr:4 row_mask:0xf bank_mask:0xf
	v_cndmask_b32_e64 v1, 0, v1, s[2:3]
	;; [unrolled: 5-line block ×3, first 2 shown]
	v_add_u16_e32 v0, v0, v1
	v_and_b32_e32 v1, 0xff, v0
	s_nop 1
	v_mov_b32_dpp v1, v1 row_bcast:15 row_mask:0xf bank_mask:0xf
	v_cndmask_b32_e64 v1, v1, 0, s[6:7]
	v_add_u16_e32 v0, v0, v1
	v_and_b32_e32 v1, 0xff, v0
	s_nop 1
	v_mov_b32_dpp v1, v1 row_bcast:31 row_mask:0xf bank_mask:0xf
	v_cndmask_b32_e64 v1, 0, v1, s[8:9]
	v_add_u16_e32 v1, v0, v1
	s_and_saveexec_b64 s[12:13], s[10:11]
	s_cbranch_execz .LBB18_1
; %bb.3:                                ;   in Loop: Header=BB18_2 Depth=1
	ds_write_b8 v3, v1
	s_branch .LBB18_1
.LBB18_4:
	v_lshl_add_u64 v[2:3], s[14:15], 0, v[2:3]
	global_store_byte v[2:3], v1, off
	s_endpgm
	.section	.rodata,"a",@progbits
	.p2align	6, 0x0
	.amdhsa_kernel _Z6kernelI14inclusive_scanILN6hipcub18BlockScanAlgorithmE1EEhLj64ELj1ELj100EEvPKT0_PS4_S4_
		.amdhsa_group_segment_fixed_size 1
		.amdhsa_private_segment_fixed_size 0
		.amdhsa_kernarg_size 280
		.amdhsa_user_sgpr_count 2
		.amdhsa_user_sgpr_dispatch_ptr 0
		.amdhsa_user_sgpr_queue_ptr 0
		.amdhsa_user_sgpr_kernarg_segment_ptr 1
		.amdhsa_user_sgpr_dispatch_id 0
		.amdhsa_user_sgpr_kernarg_preload_length 0
		.amdhsa_user_sgpr_kernarg_preload_offset 0
		.amdhsa_user_sgpr_private_segment_size 0
		.amdhsa_uses_dynamic_stack 0
		.amdhsa_enable_private_segment 0
		.amdhsa_system_sgpr_workgroup_id_x 1
		.amdhsa_system_sgpr_workgroup_id_y 0
		.amdhsa_system_sgpr_workgroup_id_z 0
		.amdhsa_system_sgpr_workgroup_info 0
		.amdhsa_system_vgpr_workitem_id 0
		.amdhsa_next_free_vgpr 6
		.amdhsa_next_free_sgpr 17
		.amdhsa_accum_offset 8
		.amdhsa_reserve_vcc 1
		.amdhsa_float_round_mode_32 0
		.amdhsa_float_round_mode_16_64 0
		.amdhsa_float_denorm_mode_32 3
		.amdhsa_float_denorm_mode_16_64 3
		.amdhsa_dx10_clamp 1
		.amdhsa_ieee_mode 1
		.amdhsa_fp16_overflow 0
		.amdhsa_tg_split 0
		.amdhsa_exception_fp_ieee_invalid_op 0
		.amdhsa_exception_fp_denorm_src 0
		.amdhsa_exception_fp_ieee_div_zero 0
		.amdhsa_exception_fp_ieee_overflow 0
		.amdhsa_exception_fp_ieee_underflow 0
		.amdhsa_exception_fp_ieee_inexact 0
		.amdhsa_exception_int_div_zero 0
	.end_amdhsa_kernel
	.section	.text._Z6kernelI14inclusive_scanILN6hipcub18BlockScanAlgorithmE1EEhLj64ELj1ELj100EEvPKT0_PS4_S4_,"axG",@progbits,_Z6kernelI14inclusive_scanILN6hipcub18BlockScanAlgorithmE1EEhLj64ELj1ELj100EEvPKT0_PS4_S4_,comdat
.Lfunc_end18:
	.size	_Z6kernelI14inclusive_scanILN6hipcub18BlockScanAlgorithmE1EEhLj64ELj1ELj100EEvPKT0_PS4_S4_, .Lfunc_end18-_Z6kernelI14inclusive_scanILN6hipcub18BlockScanAlgorithmE1EEhLj64ELj1ELj100EEvPKT0_PS4_S4_
                                        ; -- End function
	.section	.AMDGPU.csdata,"",@progbits
; Kernel info:
; codeLenInByte = 392
; NumSgprs: 23
; NumVgprs: 6
; NumAgprs: 0
; TotalNumVgprs: 6
; ScratchSize: 0
; MemoryBound: 0
; FloatMode: 240
; IeeeMode: 1
; LDSByteSize: 1 bytes/workgroup (compile time only)
; SGPRBlocks: 2
; VGPRBlocks: 0
; NumSGPRsForWavesPerEU: 23
; NumVGPRsForWavesPerEU: 6
; AccumOffset: 8
; Occupancy: 8
; WaveLimiterHint : 0
; COMPUTE_PGM_RSRC2:SCRATCH_EN: 0
; COMPUTE_PGM_RSRC2:USER_SGPR: 2
; COMPUTE_PGM_RSRC2:TRAP_HANDLER: 0
; COMPUTE_PGM_RSRC2:TGID_X_EN: 1
; COMPUTE_PGM_RSRC2:TGID_Y_EN: 0
; COMPUTE_PGM_RSRC2:TGID_Z_EN: 0
; COMPUTE_PGM_RSRC2:TIDIG_COMP_CNT: 0
; COMPUTE_PGM_RSRC3_GFX90A:ACCUM_OFFSET: 1
; COMPUTE_PGM_RSRC3_GFX90A:TG_SPLIT: 0
	.section	.text._Z6kernelI14inclusive_scanILN6hipcub18BlockScanAlgorithmE1EEhLj64ELj3ELj100EEvPKT0_PS4_S4_,"axG",@progbits,_Z6kernelI14inclusive_scanILN6hipcub18BlockScanAlgorithmE1EEhLj64ELj3ELj100EEvPKT0_PS4_S4_,comdat
	.protected	_Z6kernelI14inclusive_scanILN6hipcub18BlockScanAlgorithmE1EEhLj64ELj3ELj100EEvPKT0_PS4_S4_ ; -- Begin function _Z6kernelI14inclusive_scanILN6hipcub18BlockScanAlgorithmE1EEhLj64ELj3ELj100EEvPKT0_PS4_S4_
	.globl	_Z6kernelI14inclusive_scanILN6hipcub18BlockScanAlgorithmE1EEhLj64ELj3ELj100EEvPKT0_PS4_S4_
	.p2align	8
	.type	_Z6kernelI14inclusive_scanILN6hipcub18BlockScanAlgorithmE1EEhLj64ELj3ELj100EEvPKT0_PS4_S4_,@function
_Z6kernelI14inclusive_scanILN6hipcub18BlockScanAlgorithmE1EEhLj64ELj3ELj100EEvPKT0_PS4_S4_: ; @_Z6kernelI14inclusive_scanILN6hipcub18BlockScanAlgorithmE1EEhLj64ELj3ELj100EEvPKT0_PS4_S4_
; %bb.0:
	s_load_dword s3, s[0:1], 0x24
	s_load_dwordx4 s[16:19], s[0:1], 0x0
	v_mbcnt_lo_u32_b32 v10, -1, 0
	v_mbcnt_hi_u32_b32 v10, -1, v10
	v_add_u32_e32 v12, -1, v10
	s_waitcnt lgkmcnt(0)
	s_and_b32 s0, s3, 0xffff
	s_mul_i32 s2, s2, s0
	v_add_u32_e32 v1, s2, v0
	v_lshl_add_u32 v2, v1, 1, v1
	v_add_u32_e32 v4, 1, v2
	global_load_ubyte v1, v4, s[16:17]
	global_load_ubyte v8, v2, s[16:17]
	v_add_u32_e32 v6, 2, v2
	global_load_ubyte v9, v6, s[16:17]
	v_and_b32_e32 v13, 64, v10
	v_cmp_eq_u32_e32 vcc, 63, v0
	v_cmp_eq_u32_e64 s[0:1], 0, v0
	v_and_b32_e32 v0, 15, v10
	v_cmp_lt_i32_e64 s[14:15], v12, v13
	v_mov_b32_e32 v3, 0
	v_and_b32_e32 v11, 16, v10
	v_cmp_eq_u32_e64 s[4:5], 0, v0
	v_cmp_lt_u32_e64 s[6:7], 1, v0
	v_cmp_lt_u32_e64 s[8:9], 3, v0
	;; [unrolled: 1-line block ×3, first 2 shown]
	v_cndmask_b32_e64 v0, v12, v10, s[14:15]
	v_mov_b32_e32 v5, v3
	v_mov_b32_e32 v7, v3
	v_cmp_lt_u32_e64 s[2:3], 31, v10
	v_cmp_eq_u32_e64 s[12:13], 0, v11
	v_lshlrev_b32_e32 v0, 2, v0
	s_movk_i32 s16, 0x64
	s_waitcnt vmcnt(2)
	v_lshlrev_b16_e32 v1, 8, v1
	s_waitcnt vmcnt(1)
	v_or_b32_e32 v1, v8, v1
	v_and_b32_e32 v1, 0xffff, v1
	s_waitcnt vmcnt(0)
	v_lshl_or_b32 v1, v9, 16, v1
	s_branch .LBB19_2
.LBB19_1:                               ;   in Loop: Header=BB19_2 Depth=1
	s_or_b64 exec, exec, s[14:15]
	v_and_b32_e32 v9, 0xff, v9
	ds_bpermute_b32 v9, v0, v9
	s_add_i32 s16, s16, -1
	s_cmp_lg_u32 s16, 0
	s_waitcnt lgkmcnt(0)
	; wave barrier
	s_waitcnt lgkmcnt(0)
	v_cndmask_b32_e64 v9, v9, 0, s[0:1]
	v_add_u16_e32 v10, v9, v1
	v_add_u16_e32 v9, v10, v8
	v_add_u16_sdwa v8, v9, v1 dst_sel:DWORD dst_unused:UNUSED_PAD src0_sel:DWORD src1_sel:WORD_1
	v_lshlrev_b16_e32 v1, 8, v9
	v_and_b32_e32 v11, 0xff, v8
	v_or_b32_sdwa v1, v10, v1 dst_sel:DWORD dst_unused:UNUSED_PAD src0_sel:BYTE_0 src1_sel:DWORD
	v_lshlrev_b32_e32 v11, 16, v11
	v_or_b32_sdwa v1, v1, v11 dst_sel:DWORD dst_unused:UNUSED_PAD src0_sel:WORD_0 src1_sel:DWORD
	s_cbranch_scc0 .LBB19_4
.LBB19_2:                               ; =>This Inner Loop Header: Depth=1
	v_lshrrev_b32_e32 v8, 8, v1
	v_add_u16_e32 v9, v8, v1
	v_add_u16_sdwa v9, v9, v1 dst_sel:DWORD dst_unused:UNUSED_PAD src0_sel:DWORD src1_sel:WORD_1
	v_and_b32_e32 v10, 0xff, v9
	s_nop 1
	v_mov_b32_dpp v10, v10 row_shr:1 row_mask:0xf bank_mask:0xf
	v_cndmask_b32_e64 v10, v10, 0, s[4:5]
	v_add_u16_e32 v9, v10, v9
	v_and_b32_e32 v10, 0xff, v9
	s_nop 1
	v_mov_b32_dpp v10, v10 row_shr:2 row_mask:0xf bank_mask:0xf
	v_cndmask_b32_e64 v10, 0, v10, s[6:7]
	v_add_u16_e32 v9, v9, v10
	;; [unrolled: 5-line block ×4, first 2 shown]
	v_and_b32_e32 v10, 0xff, v9
	s_nop 1
	v_mov_b32_dpp v10, v10 row_bcast:15 row_mask:0xf bank_mask:0xf
	v_cndmask_b32_e64 v10, v10, 0, s[12:13]
	v_add_u16_e32 v9, v9, v10
	v_and_b32_e32 v10, 0xff, v9
	s_nop 1
	v_mov_b32_dpp v10, v10 row_bcast:31 row_mask:0xf bank_mask:0xf
	v_cndmask_b32_e64 v10, 0, v10, s[2:3]
	v_add_u16_e32 v9, v9, v10
	s_and_saveexec_b64 s[14:15], vcc
	s_cbranch_execz .LBB19_1
; %bb.3:                                ;   in Loop: Header=BB19_2 Depth=1
	ds_write_b8 v3, v9
	s_branch .LBB19_1
.LBB19_4:
	v_lshl_add_u64 v[0:1], s[18:19], 0, v[2:3]
	global_store_byte v[0:1], v10, off
	v_lshl_add_u64 v[0:1], s[18:19], 0, v[4:5]
	global_store_byte v[0:1], v9, off
	;; [unrolled: 2-line block ×3, first 2 shown]
	s_endpgm
	.section	.rodata,"a",@progbits
	.p2align	6, 0x0
	.amdhsa_kernel _Z6kernelI14inclusive_scanILN6hipcub18BlockScanAlgorithmE1EEhLj64ELj3ELj100EEvPKT0_PS4_S4_
		.amdhsa_group_segment_fixed_size 1
		.amdhsa_private_segment_fixed_size 0
		.amdhsa_kernarg_size 280
		.amdhsa_user_sgpr_count 2
		.amdhsa_user_sgpr_dispatch_ptr 0
		.amdhsa_user_sgpr_queue_ptr 0
		.amdhsa_user_sgpr_kernarg_segment_ptr 1
		.amdhsa_user_sgpr_dispatch_id 0
		.amdhsa_user_sgpr_kernarg_preload_length 0
		.amdhsa_user_sgpr_kernarg_preload_offset 0
		.amdhsa_user_sgpr_private_segment_size 0
		.amdhsa_uses_dynamic_stack 0
		.amdhsa_enable_private_segment 0
		.amdhsa_system_sgpr_workgroup_id_x 1
		.amdhsa_system_sgpr_workgroup_id_y 0
		.amdhsa_system_sgpr_workgroup_id_z 0
		.amdhsa_system_sgpr_workgroup_info 0
		.amdhsa_system_vgpr_workitem_id 0
		.amdhsa_next_free_vgpr 14
		.amdhsa_next_free_sgpr 20
		.amdhsa_accum_offset 16
		.amdhsa_reserve_vcc 1
		.amdhsa_float_round_mode_32 0
		.amdhsa_float_round_mode_16_64 0
		.amdhsa_float_denorm_mode_32 3
		.amdhsa_float_denorm_mode_16_64 3
		.amdhsa_dx10_clamp 1
		.amdhsa_ieee_mode 1
		.amdhsa_fp16_overflow 0
		.amdhsa_tg_split 0
		.amdhsa_exception_fp_ieee_invalid_op 0
		.amdhsa_exception_fp_denorm_src 0
		.amdhsa_exception_fp_ieee_div_zero 0
		.amdhsa_exception_fp_ieee_overflow 0
		.amdhsa_exception_fp_ieee_underflow 0
		.amdhsa_exception_fp_ieee_inexact 0
		.amdhsa_exception_int_div_zero 0
	.end_amdhsa_kernel
	.section	.text._Z6kernelI14inclusive_scanILN6hipcub18BlockScanAlgorithmE1EEhLj64ELj3ELj100EEvPKT0_PS4_S4_,"axG",@progbits,_Z6kernelI14inclusive_scanILN6hipcub18BlockScanAlgorithmE1EEhLj64ELj3ELj100EEvPKT0_PS4_S4_,comdat
.Lfunc_end19:
	.size	_Z6kernelI14inclusive_scanILN6hipcub18BlockScanAlgorithmE1EEhLj64ELj3ELj100EEvPKT0_PS4_S4_, .Lfunc_end19-_Z6kernelI14inclusive_scanILN6hipcub18BlockScanAlgorithmE1EEhLj64ELj3ELj100EEvPKT0_PS4_S4_
                                        ; -- End function
	.section	.AMDGPU.csdata,"",@progbits
; Kernel info:
; codeLenInByte = 620
; NumSgprs: 26
; NumVgprs: 14
; NumAgprs: 0
; TotalNumVgprs: 14
; ScratchSize: 0
; MemoryBound: 0
; FloatMode: 240
; IeeeMode: 1
; LDSByteSize: 1 bytes/workgroup (compile time only)
; SGPRBlocks: 3
; VGPRBlocks: 1
; NumSGPRsForWavesPerEU: 26
; NumVGPRsForWavesPerEU: 14
; AccumOffset: 16
; Occupancy: 8
; WaveLimiterHint : 0
; COMPUTE_PGM_RSRC2:SCRATCH_EN: 0
; COMPUTE_PGM_RSRC2:USER_SGPR: 2
; COMPUTE_PGM_RSRC2:TRAP_HANDLER: 0
; COMPUTE_PGM_RSRC2:TGID_X_EN: 1
; COMPUTE_PGM_RSRC2:TGID_Y_EN: 0
; COMPUTE_PGM_RSRC2:TGID_Z_EN: 0
; COMPUTE_PGM_RSRC2:TIDIG_COMP_CNT: 0
; COMPUTE_PGM_RSRC3_GFX90A:ACCUM_OFFSET: 3
; COMPUTE_PGM_RSRC3_GFX90A:TG_SPLIT: 0
	.section	.text._Z6kernelI14inclusive_scanILN6hipcub18BlockScanAlgorithmE1EEhLj64ELj4ELj100EEvPKT0_PS4_S4_,"axG",@progbits,_Z6kernelI14inclusive_scanILN6hipcub18BlockScanAlgorithmE1EEhLj64ELj4ELj100EEvPKT0_PS4_S4_,comdat
	.protected	_Z6kernelI14inclusive_scanILN6hipcub18BlockScanAlgorithmE1EEhLj64ELj4ELj100EEvPKT0_PS4_S4_ ; -- Begin function _Z6kernelI14inclusive_scanILN6hipcub18BlockScanAlgorithmE1EEhLj64ELj4ELj100EEvPKT0_PS4_S4_
	.globl	_Z6kernelI14inclusive_scanILN6hipcub18BlockScanAlgorithmE1EEhLj64ELj4ELj100EEvPKT0_PS4_S4_
	.p2align	8
	.type	_Z6kernelI14inclusive_scanILN6hipcub18BlockScanAlgorithmE1EEhLj64ELj4ELj100EEvPKT0_PS4_S4_,@function
_Z6kernelI14inclusive_scanILN6hipcub18BlockScanAlgorithmE1EEhLj64ELj4ELj100EEvPKT0_PS4_S4_: ; @_Z6kernelI14inclusive_scanILN6hipcub18BlockScanAlgorithmE1EEhLj64ELj4ELj100EEvPKT0_PS4_S4_
; %bb.0:
	s_load_dword s3, s[0:1], 0x24
	s_load_dwordx4 s[12:15], s[0:1], 0x0
	v_mbcnt_lo_u32_b32 v4, -1, 0
	v_mbcnt_hi_u32_b32 v4, -1, v4
	v_and_b32_e32 v5, 15, v4
	s_waitcnt lgkmcnt(0)
	s_and_b32 s0, s3, 0xffff
	s_mul_i32 s2, s2, s0
	v_add_lshl_u32 v2, s2, v0, 2
	global_load_dword v1, v2, s[12:13]
	v_cmp_eq_u32_e32 vcc, 0, v5
	v_cmp_lt_u32_e64 s[0:1], 1, v5
	v_cmp_lt_u32_e64 s[2:3], 3, v5
	;; [unrolled: 1-line block ×3, first 2 shown]
	v_and_b32_e32 v5, 16, v4
	v_cmp_eq_u32_e64 s[6:7], 0, v5
	v_add_u32_e32 v5, -1, v4
	v_and_b32_e32 v6, 64, v4
	v_cmp_lt_i32_e64 s[12:13], v5, v6
	v_cmp_lt_u32_e64 s[8:9], 31, v4
	v_mov_b32_e32 v3, 0
	v_cndmask_b32_e64 v4, v5, v4, s[12:13]
	v_cmp_eq_u32_e64 s[10:11], 63, v0
	v_lshlrev_b32_e32 v4, 2, v4
	v_cmp_eq_u32_e64 s[12:13], 0, v0
	s_movk_i32 s18, 0x64
	s_branch .LBB20_2
.LBB20_1:                               ;   in Loop: Header=BB20_2 Depth=1
	s_or_b64 exec, exec, s[16:17]
	v_and_b32_e32 v5, 0xff, v5
	ds_bpermute_b32 v5, v4, v5
	s_add_i32 s18, s18, -1
	s_cmp_lg_u32 s18, 0
	s_waitcnt lgkmcnt(0)
	; wave barrier
	s_waitcnt lgkmcnt(0)
	v_cndmask_b32_e64 v5, v5, 0, s[12:13]
	v_add_u16_e32 v5, v5, v1
	v_add_u16_e32 v0, v5, v0
	v_add_u16_sdwa v6, v0, v1 dst_sel:DWORD dst_unused:UNUSED_PAD src0_sel:DWORD src1_sel:WORD_1
	v_add_u16_sdwa v1, v6, v1 dst_sel:DWORD dst_unused:UNUSED_PAD src0_sel:DWORD src1_sel:BYTE_3
	v_lshlrev_b16_e32 v0, 8, v0
	v_lshlrev_b16_e32 v1, 8, v1
	v_or_b32_sdwa v0, v5, v0 dst_sel:DWORD dst_unused:UNUSED_PAD src0_sel:BYTE_0 src1_sel:DWORD
	v_or_b32_sdwa v1, v6, v1 dst_sel:WORD_1 dst_unused:UNUSED_PAD src0_sel:BYTE_0 src1_sel:DWORD
	s_nop 0
	v_or_b32_sdwa v1, v0, v1 dst_sel:DWORD dst_unused:UNUSED_PAD src0_sel:WORD_0 src1_sel:DWORD
	s_cbranch_scc0 .LBB20_4
.LBB20_2:                               ; =>This Inner Loop Header: Depth=1
	s_waitcnt vmcnt(0)
	v_lshrrev_b32_e32 v0, 8, v1
	v_add_u16_e32 v5, v0, v1
	v_add_u16_sdwa v5, v5, v1 dst_sel:DWORD dst_unused:UNUSED_PAD src0_sel:DWORD src1_sel:WORD_1
	v_add_u16_sdwa v5, v5, v1 dst_sel:DWORD dst_unused:UNUSED_PAD src0_sel:DWORD src1_sel:BYTE_3
	v_and_b32_e32 v6, 0xff, v5
	s_nop 1
	v_mov_b32_dpp v6, v6 row_shr:1 row_mask:0xf bank_mask:0xf
	v_cndmask_b32_e64 v6, v6, 0, vcc
	v_add_u16_e32 v5, v5, v6
	v_and_b32_e32 v6, 0xff, v5
	s_nop 1
	v_mov_b32_dpp v6, v6 row_shr:2 row_mask:0xf bank_mask:0xf
	v_cndmask_b32_e64 v6, 0, v6, s[0:1]
	v_add_u16_e32 v5, v5, v6
	v_and_b32_e32 v6, 0xff, v5
	s_nop 1
	v_mov_b32_dpp v6, v6 row_shr:4 row_mask:0xf bank_mask:0xf
	v_cndmask_b32_e64 v6, 0, v6, s[2:3]
	;; [unrolled: 5-line block ×3, first 2 shown]
	v_add_u16_e32 v5, v5, v6
	v_and_b32_e32 v6, 0xff, v5
	s_nop 1
	v_mov_b32_dpp v6, v6 row_bcast:15 row_mask:0xf bank_mask:0xf
	v_cndmask_b32_e64 v6, v6, 0, s[6:7]
	v_add_u16_e32 v5, v5, v6
	v_and_b32_e32 v6, 0xff, v5
	s_nop 1
	v_mov_b32_dpp v6, v6 row_bcast:31 row_mask:0xf bank_mask:0xf
	v_cndmask_b32_e64 v6, 0, v6, s[8:9]
	v_add_u16_e32 v5, v5, v6
	s_and_saveexec_b64 s[16:17], s[10:11]
	s_cbranch_execz .LBB20_1
; %bb.3:                                ;   in Loop: Header=BB20_2 Depth=1
	ds_write_b8 v3, v5
	s_branch .LBB20_1
.LBB20_4:
	v_lshl_add_u64 v[2:3], s[14:15], 0, v[2:3]
	global_store_dword v[2:3], v1, off
	s_endpgm
	.section	.rodata,"a",@progbits
	.p2align	6, 0x0
	.amdhsa_kernel _Z6kernelI14inclusive_scanILN6hipcub18BlockScanAlgorithmE1EEhLj64ELj4ELj100EEvPKT0_PS4_S4_
		.amdhsa_group_segment_fixed_size 1
		.amdhsa_private_segment_fixed_size 0
		.amdhsa_kernarg_size 280
		.amdhsa_user_sgpr_count 2
		.amdhsa_user_sgpr_dispatch_ptr 0
		.amdhsa_user_sgpr_queue_ptr 0
		.amdhsa_user_sgpr_kernarg_segment_ptr 1
		.amdhsa_user_sgpr_dispatch_id 0
		.amdhsa_user_sgpr_kernarg_preload_length 0
		.amdhsa_user_sgpr_kernarg_preload_offset 0
		.amdhsa_user_sgpr_private_segment_size 0
		.amdhsa_uses_dynamic_stack 0
		.amdhsa_enable_private_segment 0
		.amdhsa_system_sgpr_workgroup_id_x 1
		.amdhsa_system_sgpr_workgroup_id_y 0
		.amdhsa_system_sgpr_workgroup_id_z 0
		.amdhsa_system_sgpr_workgroup_info 0
		.amdhsa_system_vgpr_workitem_id 0
		.amdhsa_next_free_vgpr 7
		.amdhsa_next_free_sgpr 19
		.amdhsa_accum_offset 8
		.amdhsa_reserve_vcc 1
		.amdhsa_float_round_mode_32 0
		.amdhsa_float_round_mode_16_64 0
		.amdhsa_float_denorm_mode_32 3
		.amdhsa_float_denorm_mode_16_64 3
		.amdhsa_dx10_clamp 1
		.amdhsa_ieee_mode 1
		.amdhsa_fp16_overflow 0
		.amdhsa_tg_split 0
		.amdhsa_exception_fp_ieee_invalid_op 0
		.amdhsa_exception_fp_denorm_src 0
		.amdhsa_exception_fp_ieee_div_zero 0
		.amdhsa_exception_fp_ieee_overflow 0
		.amdhsa_exception_fp_ieee_underflow 0
		.amdhsa_exception_fp_ieee_inexact 0
		.amdhsa_exception_int_div_zero 0
	.end_amdhsa_kernel
	.section	.text._Z6kernelI14inclusive_scanILN6hipcub18BlockScanAlgorithmE1EEhLj64ELj4ELj100EEvPKT0_PS4_S4_,"axG",@progbits,_Z6kernelI14inclusive_scanILN6hipcub18BlockScanAlgorithmE1EEhLj64ELj4ELj100EEvPKT0_PS4_S4_,comdat
.Lfunc_end20:
	.size	_Z6kernelI14inclusive_scanILN6hipcub18BlockScanAlgorithmE1EEhLj64ELj4ELj100EEvPKT0_PS4_S4_, .Lfunc_end20-_Z6kernelI14inclusive_scanILN6hipcub18BlockScanAlgorithmE1EEhLj64ELj4ELj100EEvPKT0_PS4_S4_
                                        ; -- End function
	.section	.AMDGPU.csdata,"",@progbits
; Kernel info:
; codeLenInByte = 540
; NumSgprs: 25
; NumVgprs: 7
; NumAgprs: 0
; TotalNumVgprs: 7
; ScratchSize: 0
; MemoryBound: 0
; FloatMode: 240
; IeeeMode: 1
; LDSByteSize: 1 bytes/workgroup (compile time only)
; SGPRBlocks: 3
; VGPRBlocks: 0
; NumSGPRsForWavesPerEU: 25
; NumVGPRsForWavesPerEU: 7
; AccumOffset: 8
; Occupancy: 8
; WaveLimiterHint : 0
; COMPUTE_PGM_RSRC2:SCRATCH_EN: 0
; COMPUTE_PGM_RSRC2:USER_SGPR: 2
; COMPUTE_PGM_RSRC2:TRAP_HANDLER: 0
; COMPUTE_PGM_RSRC2:TGID_X_EN: 1
; COMPUTE_PGM_RSRC2:TGID_Y_EN: 0
; COMPUTE_PGM_RSRC2:TGID_Z_EN: 0
; COMPUTE_PGM_RSRC2:TIDIG_COMP_CNT: 0
; COMPUTE_PGM_RSRC3_GFX90A:ACCUM_OFFSET: 1
; COMPUTE_PGM_RSRC3_GFX90A:TG_SPLIT: 0
	.section	.text._Z6kernelI14inclusive_scanILN6hipcub18BlockScanAlgorithmE1EEhLj64ELj8ELj100EEvPKT0_PS4_S4_,"axG",@progbits,_Z6kernelI14inclusive_scanILN6hipcub18BlockScanAlgorithmE1EEhLj64ELj8ELj100EEvPKT0_PS4_S4_,comdat
	.protected	_Z6kernelI14inclusive_scanILN6hipcub18BlockScanAlgorithmE1EEhLj64ELj8ELj100EEvPKT0_PS4_S4_ ; -- Begin function _Z6kernelI14inclusive_scanILN6hipcub18BlockScanAlgorithmE1EEhLj64ELj8ELj100EEvPKT0_PS4_S4_
	.globl	_Z6kernelI14inclusive_scanILN6hipcub18BlockScanAlgorithmE1EEhLj64ELj8ELj100EEvPKT0_PS4_S4_
	.p2align	8
	.type	_Z6kernelI14inclusive_scanILN6hipcub18BlockScanAlgorithmE1EEhLj64ELj8ELj100EEvPKT0_PS4_S4_,@function
_Z6kernelI14inclusive_scanILN6hipcub18BlockScanAlgorithmE1EEhLj64ELj8ELj100EEvPKT0_PS4_S4_: ; @_Z6kernelI14inclusive_scanILN6hipcub18BlockScanAlgorithmE1EEhLj64ELj8ELj100EEvPKT0_PS4_S4_
; %bb.0:
	s_load_dword s3, s[0:1], 0x24
	s_load_dwordx4 s[12:15], s[0:1], 0x0
	v_mbcnt_lo_u32_b32 v1, -1, 0
	v_mbcnt_hi_u32_b32 v1, -1, v1
	v_and_b32_e32 v6, 15, v1
	s_waitcnt lgkmcnt(0)
	s_and_b32 s0, s3, 0xffff
	s_mul_i32 s2, s2, s0
	v_add_lshl_u32 v2, s2, v0, 3
	global_load_dwordx2 v[4:5], v2, s[12:13]
	v_cmp_eq_u32_e32 vcc, 0, v6
	v_cmp_lt_u32_e64 s[0:1], 1, v6
	v_cmp_lt_u32_e64 s[2:3], 3, v6
	;; [unrolled: 1-line block ×3, first 2 shown]
	v_and_b32_e32 v6, 16, v1
	v_cmp_eq_u32_e64 s[6:7], 0, v6
	v_add_u32_e32 v6, -1, v1
	v_and_b32_e32 v7, 64, v1
	v_cmp_lt_i32_e64 s[12:13], v6, v7
	v_cmp_lt_u32_e64 s[8:9], 31, v1
	v_mov_b32_e32 v3, 0
	v_cndmask_b32_e64 v1, v6, v1, s[12:13]
	v_cmp_eq_u32_e64 s[10:11], 63, v0
	v_lshlrev_b32_e32 v1, 2, v1
	v_cmp_eq_u32_e64 s[12:13], 0, v0
	s_movk_i32 s18, 0x64
	s_branch .LBB21_2
.LBB21_1:                               ;   in Loop: Header=BB21_2 Depth=1
	s_or_b64 exec, exec, s[16:17]
	v_and_b32_e32 v7, 0xff, v7
	ds_bpermute_b32 v7, v1, v7
	s_add_i32 s18, s18, -1
	s_cmp_lg_u32 s18, 0
	s_waitcnt lgkmcnt(0)
	; wave barrier
	s_waitcnt lgkmcnt(0)
	v_cndmask_b32_e64 v7, v7, 0, s[12:13]
	v_add_u16_e32 v7, v7, v4
	v_add_u16_e32 v6, v7, v6
	v_add_u16_sdwa v8, v6, v4 dst_sel:DWORD dst_unused:UNUSED_PAD src0_sel:DWORD src1_sel:WORD_1
	v_lshlrev_b16_e32 v6, 8, v6
	v_add_u16_sdwa v4, v8, v4 dst_sel:DWORD dst_unused:UNUSED_PAD src0_sel:DWORD src1_sel:BYTE_3
	v_or_b32_sdwa v6, v7, v6 dst_sel:DWORD dst_unused:UNUSED_PAD src0_sel:BYTE_0 src1_sel:DWORD
	v_add_u16_e32 v7, v4, v5
	v_add_u16_e32 v0, v7, v0
	v_add_u16_sdwa v9, v0, v5 dst_sel:DWORD dst_unused:UNUSED_PAD src0_sel:DWORD src1_sel:WORD_1
	v_add_u16_sdwa v5, v9, v5 dst_sel:DWORD dst_unused:UNUSED_PAD src0_sel:DWORD src1_sel:BYTE_3
	v_lshlrev_b16_e32 v4, 8, v4
	v_lshlrev_b16_e32 v0, 8, v0
	;; [unrolled: 1-line block ×3, first 2 shown]
	v_or_b32_sdwa v4, v8, v4 dst_sel:WORD_1 dst_unused:UNUSED_PAD src0_sel:BYTE_0 src1_sel:DWORD
	v_or_b32_sdwa v0, v7, v0 dst_sel:DWORD dst_unused:UNUSED_PAD src0_sel:BYTE_0 src1_sel:DWORD
	v_or_b32_sdwa v5, v9, v5 dst_sel:WORD_1 dst_unused:UNUSED_PAD src0_sel:BYTE_0 src1_sel:DWORD
	v_or_b32_sdwa v4, v6, v4 dst_sel:DWORD dst_unused:UNUSED_PAD src0_sel:WORD_0 src1_sel:DWORD
	v_or_b32_sdwa v5, v0, v5 dst_sel:DWORD dst_unused:UNUSED_PAD src0_sel:WORD_0 src1_sel:DWORD
	s_cbranch_scc0 .LBB21_4
.LBB21_2:                               ; =>This Inner Loop Header: Depth=1
	s_waitcnt vmcnt(0)
	v_lshrrev_b32_e32 v6, 8, v4
	v_add_u16_e32 v7, v6, v4
	v_add_u16_sdwa v7, v7, v4 dst_sel:DWORD dst_unused:UNUSED_PAD src0_sel:DWORD src1_sel:WORD_1
	v_add_u16_sdwa v7, v7, v4 dst_sel:DWORD dst_unused:UNUSED_PAD src0_sel:DWORD src1_sel:BYTE_3
	v_lshrrev_b32_e32 v0, 8, v5
	v_add_u16_e32 v7, v7, v5
	v_add_u16_e32 v7, v7, v0
	v_add_u16_sdwa v7, v7, v5 dst_sel:DWORD dst_unused:UNUSED_PAD src0_sel:DWORD src1_sel:WORD_1
	v_add_u16_sdwa v7, v7, v5 dst_sel:DWORD dst_unused:UNUSED_PAD src0_sel:DWORD src1_sel:BYTE_3
	v_and_b32_e32 v8, 0xff, v7
	s_nop 1
	v_mov_b32_dpp v8, v8 row_shr:1 row_mask:0xf bank_mask:0xf
	v_cndmask_b32_e64 v8, v8, 0, vcc
	v_add_u16_e32 v7, v7, v8
	v_and_b32_e32 v8, 0xff, v7
	s_nop 1
	v_mov_b32_dpp v8, v8 row_shr:2 row_mask:0xf bank_mask:0xf
	v_cndmask_b32_e64 v8, 0, v8, s[0:1]
	v_add_u16_e32 v7, v7, v8
	v_and_b32_e32 v8, 0xff, v7
	s_nop 1
	v_mov_b32_dpp v8, v8 row_shr:4 row_mask:0xf bank_mask:0xf
	v_cndmask_b32_e64 v8, 0, v8, s[2:3]
	;; [unrolled: 5-line block ×3, first 2 shown]
	v_add_u16_e32 v7, v7, v8
	v_and_b32_e32 v8, 0xff, v7
	s_nop 1
	v_mov_b32_dpp v8, v8 row_bcast:15 row_mask:0xf bank_mask:0xf
	v_cndmask_b32_e64 v8, v8, 0, s[6:7]
	v_add_u16_e32 v7, v7, v8
	v_and_b32_e32 v8, 0xff, v7
	s_nop 1
	v_mov_b32_dpp v8, v8 row_bcast:31 row_mask:0xf bank_mask:0xf
	v_cndmask_b32_e64 v8, 0, v8, s[8:9]
	v_add_u16_e32 v7, v7, v8
	s_and_saveexec_b64 s[16:17], s[10:11]
	s_cbranch_execz .LBB21_1
; %bb.3:                                ;   in Loop: Header=BB21_2 Depth=1
	ds_write_b8 v3, v7
	s_branch .LBB21_1
.LBB21_4:
	v_lshl_add_u64 v[0:1], s[14:15], 0, v[2:3]
	global_store_dwordx2 v[0:1], v[4:5], off
	s_endpgm
	.section	.rodata,"a",@progbits
	.p2align	6, 0x0
	.amdhsa_kernel _Z6kernelI14inclusive_scanILN6hipcub18BlockScanAlgorithmE1EEhLj64ELj8ELj100EEvPKT0_PS4_S4_
		.amdhsa_group_segment_fixed_size 1
		.amdhsa_private_segment_fixed_size 0
		.amdhsa_kernarg_size 280
		.amdhsa_user_sgpr_count 2
		.amdhsa_user_sgpr_dispatch_ptr 0
		.amdhsa_user_sgpr_queue_ptr 0
		.amdhsa_user_sgpr_kernarg_segment_ptr 1
		.amdhsa_user_sgpr_dispatch_id 0
		.amdhsa_user_sgpr_kernarg_preload_length 0
		.amdhsa_user_sgpr_kernarg_preload_offset 0
		.amdhsa_user_sgpr_private_segment_size 0
		.amdhsa_uses_dynamic_stack 0
		.amdhsa_enable_private_segment 0
		.amdhsa_system_sgpr_workgroup_id_x 1
		.amdhsa_system_sgpr_workgroup_id_y 0
		.amdhsa_system_sgpr_workgroup_id_z 0
		.amdhsa_system_sgpr_workgroup_info 0
		.amdhsa_system_vgpr_workitem_id 0
		.amdhsa_next_free_vgpr 10
		.amdhsa_next_free_sgpr 19
		.amdhsa_accum_offset 12
		.amdhsa_reserve_vcc 1
		.amdhsa_float_round_mode_32 0
		.amdhsa_float_round_mode_16_64 0
		.amdhsa_float_denorm_mode_32 3
		.amdhsa_float_denorm_mode_16_64 3
		.amdhsa_dx10_clamp 1
		.amdhsa_ieee_mode 1
		.amdhsa_fp16_overflow 0
		.amdhsa_tg_split 0
		.amdhsa_exception_fp_ieee_invalid_op 0
		.amdhsa_exception_fp_denorm_src 0
		.amdhsa_exception_fp_ieee_div_zero 0
		.amdhsa_exception_fp_ieee_overflow 0
		.amdhsa_exception_fp_ieee_underflow 0
		.amdhsa_exception_fp_ieee_inexact 0
		.amdhsa_exception_int_div_zero 0
	.end_amdhsa_kernel
	.section	.text._Z6kernelI14inclusive_scanILN6hipcub18BlockScanAlgorithmE1EEhLj64ELj8ELj100EEvPKT0_PS4_S4_,"axG",@progbits,_Z6kernelI14inclusive_scanILN6hipcub18BlockScanAlgorithmE1EEhLj64ELj8ELj100EEvPKT0_PS4_S4_,comdat
.Lfunc_end21:
	.size	_Z6kernelI14inclusive_scanILN6hipcub18BlockScanAlgorithmE1EEhLj64ELj8ELj100EEvPKT0_PS4_S4_, .Lfunc_end21-_Z6kernelI14inclusive_scanILN6hipcub18BlockScanAlgorithmE1EEhLj64ELj8ELj100EEvPKT0_PS4_S4_
                                        ; -- End function
	.section	.AMDGPU.csdata,"",@progbits
; Kernel info:
; codeLenInByte = 620
; NumSgprs: 25
; NumVgprs: 10
; NumAgprs: 0
; TotalNumVgprs: 10
; ScratchSize: 0
; MemoryBound: 0
; FloatMode: 240
; IeeeMode: 1
; LDSByteSize: 1 bytes/workgroup (compile time only)
; SGPRBlocks: 3
; VGPRBlocks: 1
; NumSGPRsForWavesPerEU: 25
; NumVGPRsForWavesPerEU: 10
; AccumOffset: 12
; Occupancy: 8
; WaveLimiterHint : 0
; COMPUTE_PGM_RSRC2:SCRATCH_EN: 0
; COMPUTE_PGM_RSRC2:USER_SGPR: 2
; COMPUTE_PGM_RSRC2:TRAP_HANDLER: 0
; COMPUTE_PGM_RSRC2:TGID_X_EN: 1
; COMPUTE_PGM_RSRC2:TGID_Y_EN: 0
; COMPUTE_PGM_RSRC2:TGID_Z_EN: 0
; COMPUTE_PGM_RSRC2:TIDIG_COMP_CNT: 0
; COMPUTE_PGM_RSRC3_GFX90A:ACCUM_OFFSET: 2
; COMPUTE_PGM_RSRC3_GFX90A:TG_SPLIT: 0
	.section	.text._Z6kernelI14inclusive_scanILN6hipcub18BlockScanAlgorithmE1EEhLj64ELj11ELj100EEvPKT0_PS4_S4_,"axG",@progbits,_Z6kernelI14inclusive_scanILN6hipcub18BlockScanAlgorithmE1EEhLj64ELj11ELj100EEvPKT0_PS4_S4_,comdat
	.protected	_Z6kernelI14inclusive_scanILN6hipcub18BlockScanAlgorithmE1EEhLj64ELj11ELj100EEvPKT0_PS4_S4_ ; -- Begin function _Z6kernelI14inclusive_scanILN6hipcub18BlockScanAlgorithmE1EEhLj64ELj11ELj100EEvPKT0_PS4_S4_
	.globl	_Z6kernelI14inclusive_scanILN6hipcub18BlockScanAlgorithmE1EEhLj64ELj11ELj100EEvPKT0_PS4_S4_
	.p2align	8
	.type	_Z6kernelI14inclusive_scanILN6hipcub18BlockScanAlgorithmE1EEhLj64ELj11ELj100EEvPKT0_PS4_S4_,@function
_Z6kernelI14inclusive_scanILN6hipcub18BlockScanAlgorithmE1EEhLj64ELj11ELj100EEvPKT0_PS4_S4_: ; @_Z6kernelI14inclusive_scanILN6hipcub18BlockScanAlgorithmE1EEhLj64ELj11ELj100EEvPKT0_PS4_S4_
; %bb.0:
	s_load_dword s3, s[0:1], 0x24
	s_load_dwordx4 s[16:19], s[0:1], 0x0
	v_mbcnt_lo_u32_b32 v34, -1, 0
	v_mbcnt_hi_u32_b32 v34, -1, v34
	v_add_u32_e32 v36, -1, v34
	s_waitcnt lgkmcnt(0)
	s_and_b32 s0, s3, 0xffff
	s_mul_i32 s2, s2, s0
	v_add_u32_e32 v1, s2, v0
	v_mul_lo_u32 v2, v1, 11
	v_add_u32_e32 v6, 3, v2
	v_add_u32_e32 v4, 1, v2
	global_load_ubyte v26, v2, s[16:17]
	global_load_ubyte v27, v4, s[16:17]
	v_add_u32_e32 v8, 4, v2
	v_add_u32_e32 v10, 5, v2
	;; [unrolled: 1-line block ×4, first 2 shown]
	global_load_ubyte v28, v6, s[16:17]
	global_load_ubyte v29, v8, s[16:17]
	;; [unrolled: 1-line block ×5, first 2 shown]
	v_add_u32_e32 v22, 2, v2
	global_load_ubyte v33, v22, s[16:17]
	v_add_u32_e32 v16, 8, v2
	v_add_u32_e32 v18, 9, v2
	v_add_u32_e32 v20, 10, v2
	global_load_ubyte v24, v16, s[16:17]
	global_load_ubyte v1, v18, s[16:17]
	;; [unrolled: 1-line block ×3, first 2 shown]
	v_and_b32_e32 v37, 64, v34
	v_cmp_eq_u32_e32 vcc, 63, v0
	v_cmp_eq_u32_e64 s[0:1], 0, v0
	v_and_b32_e32 v0, 15, v34
	v_cmp_lt_i32_e64 s[14:15], v36, v37
	v_mov_b32_e32 v3, 0
	v_and_b32_e32 v35, 16, v34
	v_cmp_eq_u32_e64 s[4:5], 0, v0
	v_cmp_lt_u32_e64 s[6:7], 1, v0
	v_cmp_lt_u32_e64 s[8:9], 3, v0
	;; [unrolled: 1-line block ×3, first 2 shown]
	v_cndmask_b32_e64 v0, v36, v34, s[14:15]
	v_mov_b32_e32 v5, v3
	v_mov_b32_e32 v23, v3
	;; [unrolled: 1-line block ×10, first 2 shown]
	v_cmp_lt_u32_e64 s[2:3], 31, v34
	v_cmp_eq_u32_e64 s[12:13], 0, v35
	v_lshlrev_b32_e32 v0, 2, v0
	s_movk_i32 s16, 0x64
	s_waitcnt vmcnt(9)
	v_lshlrev_b16_e32 v27, 8, v27
	s_waitcnt vmcnt(8)
	v_lshlrev_b16_e32 v28, 8, v28
	v_or_b32_e32 v26, v26, v27
	s_waitcnt vmcnt(6)
	v_lshlrev_b16_e32 v30, 8, v30
	s_waitcnt vmcnt(4)
	v_lshlrev_b16_e32 v32, 8, v32
	s_waitcnt vmcnt(3)
	v_or_b32_sdwa v27, v33, v28 dst_sel:WORD_1 dst_unused:UNUSED_PAD src0_sel:DWORD src1_sel:DWORD
	v_or_b32_e32 v28, v29, v30
	v_or_b32_sdwa v29, v31, v32 dst_sel:WORD_1 dst_unused:UNUSED_PAD src0_sel:DWORD src1_sel:DWORD
	v_or_b32_sdwa v26, v26, v27 dst_sel:DWORD dst_unused:UNUSED_PAD src0_sel:WORD_0 src1_sel:DWORD
	v_or_b32_sdwa v27, v28, v29 dst_sel:DWORD dst_unused:UNUSED_PAD src0_sel:WORD_0 src1_sel:DWORD
	s_branch .LBB22_2
.LBB22_1:                               ;   in Loop: Header=BB22_2 Depth=1
	s_or_b64 exec, exec, s[14:15]
	v_and_b32_e32 v30, 0xff, v30
	ds_bpermute_b32 v30, v0, v30
	s_add_i32 s16, s16, -1
	s_cmp_lg_u32 s16, 0
	s_waitcnt lgkmcnt(0)
	; wave barrier
	s_waitcnt lgkmcnt(0)
	v_cndmask_b32_e64 v30, v30, 0, s[0:1]
	v_add_u16_e32 v31, v30, v26
	v_add_u16_e32 v30, v31, v29
	v_add_u16_sdwa v29, v30, v26 dst_sel:DWORD dst_unused:UNUSED_PAD src0_sel:DWORD src1_sel:WORD_1
	v_add_u16_sdwa v34, v29, v26 dst_sel:DWORD dst_unused:UNUSED_PAD src0_sel:DWORD src1_sel:BYTE_3
	v_add_u16_e32 v35, v34, v27
	v_lshlrev_b16_e32 v32, 8, v30
	v_add_u16_e32 v33, v35, v28
	v_or_b32_sdwa v26, v31, v32 dst_sel:DWORD dst_unused:UNUSED_PAD src0_sel:BYTE_0 src1_sel:DWORD
	v_add_u16_sdwa v32, v33, v27 dst_sel:DWORD dst_unused:UNUSED_PAD src0_sel:DWORD src1_sel:WORD_1
	v_add_u16_sdwa v28, v32, v27 dst_sel:DWORD dst_unused:UNUSED_PAD src0_sel:DWORD src1_sel:BYTE_3
	v_lshlrev_b16_e32 v27, 8, v34
	v_or_b32_sdwa v27, v29, v27 dst_sel:WORD_1 dst_unused:UNUSED_PAD src0_sel:BYTE_0 src1_sel:DWORD
	v_add_u16_e32 v24, v28, v24
	v_or_b32_sdwa v26, v26, v27 dst_sel:DWORD dst_unused:UNUSED_PAD src0_sel:WORD_0 src1_sel:DWORD
	v_lshlrev_b16_e32 v27, 8, v33
	v_lshlrev_b16_e32 v36, 8, v28
	v_add_u16_e32 v1, v24, v1
	v_or_b32_sdwa v27, v35, v27 dst_sel:DWORD dst_unused:UNUSED_PAD src0_sel:BYTE_0 src1_sel:DWORD
	v_or_b32_sdwa v36, v32, v36 dst_sel:WORD_1 dst_unused:UNUSED_PAD src0_sel:BYTE_0 src1_sel:DWORD
	v_add_u16_e32 v25, v1, v25
	v_or_b32_sdwa v27, v27, v36 dst_sel:DWORD dst_unused:UNUSED_PAD src0_sel:WORD_0 src1_sel:DWORD
	s_cbranch_scc0 .LBB22_4
.LBB22_2:                               ; =>This Inner Loop Header: Depth=1
	v_lshrrev_b32_e32 v29, 8, v26
	v_add_u16_e32 v30, v29, v26
	v_add_u16_sdwa v30, v30, v26 dst_sel:DWORD dst_unused:UNUSED_PAD src0_sel:DWORD src1_sel:WORD_1
	v_add_u16_sdwa v30, v30, v26 dst_sel:DWORD dst_unused:UNUSED_PAD src0_sel:DWORD src1_sel:BYTE_3
	v_lshrrev_b32_e32 v28, 8, v27
	v_add_u16_e32 v30, v30, v27
	v_add_u16_e32 v30, v30, v28
	v_add_u16_sdwa v30, v30, v27 dst_sel:DWORD dst_unused:UNUSED_PAD src0_sel:DWORD src1_sel:WORD_1
	v_add_u16_sdwa v30, v30, v27 dst_sel:DWORD dst_unused:UNUSED_PAD src0_sel:DWORD src1_sel:BYTE_3
	s_waitcnt vmcnt(2)
	v_add_u16_e32 v30, v30, v24
	s_waitcnt vmcnt(1)
	v_add_u16_e32 v30, v30, v1
	;; [unrolled: 2-line block ×3, first 2 shown]
	v_and_b32_e32 v31, 0xff, v30
	s_nop 1
	v_mov_b32_dpp v31, v31 row_shr:1 row_mask:0xf bank_mask:0xf
	v_cndmask_b32_e64 v31, v31, 0, s[4:5]
	v_add_u16_e32 v30, v30, v31
	v_and_b32_e32 v31, 0xff, v30
	s_nop 1
	v_mov_b32_dpp v31, v31 row_shr:2 row_mask:0xf bank_mask:0xf
	v_cndmask_b32_e64 v31, 0, v31, s[6:7]
	v_add_u16_e32 v30, v30, v31
	;; [unrolled: 5-line block ×4, first 2 shown]
	v_and_b32_e32 v31, 0xff, v30
	s_nop 1
	v_mov_b32_dpp v31, v31 row_bcast:15 row_mask:0xf bank_mask:0xf
	v_cndmask_b32_e64 v31, v31, 0, s[12:13]
	v_add_u16_e32 v30, v30, v31
	v_and_b32_e32 v31, 0xff, v30
	s_nop 1
	v_mov_b32_dpp v31, v31 row_bcast:31 row_mask:0xf bank_mask:0xf
	v_cndmask_b32_e64 v31, 0, v31, s[2:3]
	v_add_u16_e32 v30, v30, v31
	s_and_saveexec_b64 s[14:15], vcc
	s_cbranch_execz .LBB22_1
; %bb.3:                                ;   in Loop: Header=BB22_2 Depth=1
	ds_write_b8 v3, v30
	s_branch .LBB22_1
.LBB22_4:
	v_lshl_add_u64 v[2:3], s[18:19], 0, v[2:3]
	global_store_byte v[2:3], v31, off
	v_lshl_add_u64 v[2:3], s[18:19], 0, v[4:5]
	global_store_byte v[2:3], v30, off
	;; [unrolled: 2-line block ×11, first 2 shown]
	s_endpgm
	.section	.rodata,"a",@progbits
	.p2align	6, 0x0
	.amdhsa_kernel _Z6kernelI14inclusive_scanILN6hipcub18BlockScanAlgorithmE1EEhLj64ELj11ELj100EEvPKT0_PS4_S4_
		.amdhsa_group_segment_fixed_size 1
		.amdhsa_private_segment_fixed_size 0
		.amdhsa_kernarg_size 280
		.amdhsa_user_sgpr_count 2
		.amdhsa_user_sgpr_dispatch_ptr 0
		.amdhsa_user_sgpr_queue_ptr 0
		.amdhsa_user_sgpr_kernarg_segment_ptr 1
		.amdhsa_user_sgpr_dispatch_id 0
		.amdhsa_user_sgpr_kernarg_preload_length 0
		.amdhsa_user_sgpr_kernarg_preload_offset 0
		.amdhsa_user_sgpr_private_segment_size 0
		.amdhsa_uses_dynamic_stack 0
		.amdhsa_enable_private_segment 0
		.amdhsa_system_sgpr_workgroup_id_x 1
		.amdhsa_system_sgpr_workgroup_id_y 0
		.amdhsa_system_sgpr_workgroup_id_z 0
		.amdhsa_system_sgpr_workgroup_info 0
		.amdhsa_system_vgpr_workitem_id 0
		.amdhsa_next_free_vgpr 38
		.amdhsa_next_free_sgpr 20
		.amdhsa_accum_offset 40
		.amdhsa_reserve_vcc 1
		.amdhsa_float_round_mode_32 0
		.amdhsa_float_round_mode_16_64 0
		.amdhsa_float_denorm_mode_32 3
		.amdhsa_float_denorm_mode_16_64 3
		.amdhsa_dx10_clamp 1
		.amdhsa_ieee_mode 1
		.amdhsa_fp16_overflow 0
		.amdhsa_tg_split 0
		.amdhsa_exception_fp_ieee_invalid_op 0
		.amdhsa_exception_fp_denorm_src 0
		.amdhsa_exception_fp_ieee_div_zero 0
		.amdhsa_exception_fp_ieee_overflow 0
		.amdhsa_exception_fp_ieee_underflow 0
		.amdhsa_exception_fp_ieee_inexact 0
		.amdhsa_exception_int_div_zero 0
	.end_amdhsa_kernel
	.section	.text._Z6kernelI14inclusive_scanILN6hipcub18BlockScanAlgorithmE1EEhLj64ELj11ELj100EEvPKT0_PS4_S4_,"axG",@progbits,_Z6kernelI14inclusive_scanILN6hipcub18BlockScanAlgorithmE1EEhLj64ELj11ELj100EEvPKT0_PS4_S4_,comdat
.Lfunc_end22:
	.size	_Z6kernelI14inclusive_scanILN6hipcub18BlockScanAlgorithmE1EEhLj64ELj11ELj100EEvPKT0_PS4_S4_, .Lfunc_end22-_Z6kernelI14inclusive_scanILN6hipcub18BlockScanAlgorithmE1EEhLj64ELj11ELj100EEvPKT0_PS4_S4_
                                        ; -- End function
	.section	.AMDGPU.csdata,"",@progbits
; Kernel info:
; codeLenInByte = 1052
; NumSgprs: 26
; NumVgprs: 38
; NumAgprs: 0
; TotalNumVgprs: 38
; ScratchSize: 0
; MemoryBound: 0
; FloatMode: 240
; IeeeMode: 1
; LDSByteSize: 1 bytes/workgroup (compile time only)
; SGPRBlocks: 3
; VGPRBlocks: 4
; NumSGPRsForWavesPerEU: 26
; NumVGPRsForWavesPerEU: 38
; AccumOffset: 40
; Occupancy: 8
; WaveLimiterHint : 0
; COMPUTE_PGM_RSRC2:SCRATCH_EN: 0
; COMPUTE_PGM_RSRC2:USER_SGPR: 2
; COMPUTE_PGM_RSRC2:TRAP_HANDLER: 0
; COMPUTE_PGM_RSRC2:TGID_X_EN: 1
; COMPUTE_PGM_RSRC2:TGID_Y_EN: 0
; COMPUTE_PGM_RSRC2:TGID_Z_EN: 0
; COMPUTE_PGM_RSRC2:TIDIG_COMP_CNT: 0
; COMPUTE_PGM_RSRC3_GFX90A:ACCUM_OFFSET: 9
; COMPUTE_PGM_RSRC3_GFX90A:TG_SPLIT: 0
	.section	.text._Z6kernelI14inclusive_scanILN6hipcub18BlockScanAlgorithmE1EEhLj64ELj16ELj100EEvPKT0_PS4_S4_,"axG",@progbits,_Z6kernelI14inclusive_scanILN6hipcub18BlockScanAlgorithmE1EEhLj64ELj16ELj100EEvPKT0_PS4_S4_,comdat
	.protected	_Z6kernelI14inclusive_scanILN6hipcub18BlockScanAlgorithmE1EEhLj64ELj16ELj100EEvPKT0_PS4_S4_ ; -- Begin function _Z6kernelI14inclusive_scanILN6hipcub18BlockScanAlgorithmE1EEhLj64ELj16ELj100EEvPKT0_PS4_S4_
	.globl	_Z6kernelI14inclusive_scanILN6hipcub18BlockScanAlgorithmE1EEhLj64ELj16ELj100EEvPKT0_PS4_S4_
	.p2align	8
	.type	_Z6kernelI14inclusive_scanILN6hipcub18BlockScanAlgorithmE1EEhLj64ELj16ELj100EEvPKT0_PS4_S4_,@function
_Z6kernelI14inclusive_scanILN6hipcub18BlockScanAlgorithmE1EEhLj64ELj16ELj100EEvPKT0_PS4_S4_: ; @_Z6kernelI14inclusive_scanILN6hipcub18BlockScanAlgorithmE1EEhLj64ELj16ELj100EEvPKT0_PS4_S4_
; %bb.0:
	s_load_dword s3, s[0:1], 0x24
	s_load_dwordx4 s[12:15], s[0:1], 0x0
	v_mbcnt_lo_u32_b32 v1, -1, 0
	v_mbcnt_hi_u32_b32 v1, -1, v1
	v_and_b32_e32 v8, 15, v1
	s_waitcnt lgkmcnt(0)
	s_and_b32 s0, s3, 0xffff
	s_mul_i32 s2, s2, s0
	v_add_lshl_u32 v6, s2, v0, 4
	global_load_dwordx4 v[2:5], v6, s[12:13]
	v_cmp_eq_u32_e32 vcc, 0, v8
	v_cmp_lt_u32_e64 s[0:1], 1, v8
	v_cmp_lt_u32_e64 s[2:3], 3, v8
	;; [unrolled: 1-line block ×3, first 2 shown]
	v_and_b32_e32 v8, 16, v1
	v_cmp_eq_u32_e64 s[6:7], 0, v8
	v_add_u32_e32 v8, -1, v1
	v_and_b32_e32 v9, 64, v1
	v_cmp_lt_i32_e64 s[12:13], v8, v9
	v_cmp_lt_u32_e64 s[8:9], 31, v1
	v_mov_b32_e32 v7, 0
	v_cndmask_b32_e64 v1, v8, v1, s[12:13]
	v_cmp_eq_u32_e64 s[10:11], 63, v0
	v_lshlrev_b32_e32 v1, 2, v1
	v_cmp_eq_u32_e64 s[12:13], 0, v0
	s_movk_i32 s18, 0x64
	s_branch .LBB23_2
.LBB23_1:                               ;   in Loop: Header=BB23_2 Depth=1
	s_or_b64 exec, exec, s[16:17]
	v_and_b32_e32 v11, 0xff, v11
	ds_bpermute_b32 v11, v1, v11
	s_add_i32 s18, s18, -1
	s_cmp_lg_u32 s18, 0
	s_waitcnt lgkmcnt(0)
	; wave barrier
	s_waitcnt lgkmcnt(0)
	v_cndmask_b32_e64 v11, v11, 0, s[12:13]
	v_add_u16_e32 v11, v11, v2
	v_add_u16_e32 v10, v11, v10
	v_add_u16_sdwa v12, v10, v2 dst_sel:DWORD dst_unused:UNUSED_PAD src0_sel:DWORD src1_sel:WORD_1
	v_lshlrev_b16_e32 v10, 8, v10
	v_add_u16_sdwa v2, v12, v2 dst_sel:DWORD dst_unused:UNUSED_PAD src0_sel:DWORD src1_sel:BYTE_3
	v_or_b32_sdwa v10, v11, v10 dst_sel:DWORD dst_unused:UNUSED_PAD src0_sel:BYTE_0 src1_sel:DWORD
	v_add_u16_e32 v11, v2, v3
	v_add_u16_e32 v8, v11, v8
	v_add_u16_sdwa v13, v8, v3 dst_sel:DWORD dst_unused:UNUSED_PAD src0_sel:DWORD src1_sel:WORD_1
	v_add_u16_sdwa v3, v13, v3 dst_sel:DWORD dst_unused:UNUSED_PAD src0_sel:DWORD src1_sel:BYTE_3
	v_add_u16_e32 v14, v3, v4
	v_add_u16_e32 v15, v14, v9
	v_add_u16_sdwa v16, v15, v4 dst_sel:DWORD dst_unused:UNUSED_PAD src0_sel:DWORD src1_sel:WORD_1
	v_add_u16_sdwa v4, v16, v4 dst_sel:DWORD dst_unused:UNUSED_PAD src0_sel:DWORD src1_sel:BYTE_3
	;; [unrolled: 4-line block ×3, first 2 shown]
	v_lshlrev_b16_e32 v8, 8, v8
	v_lshlrev_b16_e32 v3, 8, v3
	;; [unrolled: 1-line block ×3, first 2 shown]
	v_or_b32_sdwa v8, v11, v8 dst_sel:DWORD dst_unused:UNUSED_PAD src0_sel:BYTE_0 src1_sel:DWORD
	v_or_b32_sdwa v9, v13, v3 dst_sel:WORD_1 dst_unused:UNUSED_PAD src0_sel:BYTE_0 src1_sel:DWORD
	v_lshlrev_b16_e32 v11, 8, v15
	v_lshlrev_b16_e32 v4, 8, v4
	v_lshlrev_b16_e32 v13, 8, v18
	v_lshlrev_b16_e32 v5, 8, v5
	v_or_b32_sdwa v0, v12, v0 dst_sel:WORD_1 dst_unused:UNUSED_PAD src0_sel:BYTE_0 src1_sel:DWORD
	v_or_b32_sdwa v11, v14, v11 dst_sel:DWORD dst_unused:UNUSED_PAD src0_sel:BYTE_0 src1_sel:DWORD
	v_or_b32_sdwa v12, v16, v4 dst_sel:WORD_1 dst_unused:UNUSED_PAD src0_sel:BYTE_0 src1_sel:DWORD
	v_or_b32_sdwa v13, v17, v13 dst_sel:DWORD dst_unused:UNUSED_PAD src0_sel:BYTE_0 src1_sel:DWORD
	v_or_b32_sdwa v14, v19, v5 dst_sel:WORD_1 dst_unused:UNUSED_PAD src0_sel:BYTE_0 src1_sel:DWORD
	v_or_b32_sdwa v2, v10, v0 dst_sel:DWORD dst_unused:UNUSED_PAD src0_sel:WORD_0 src1_sel:DWORD
	v_or_b32_sdwa v3, v8, v9 dst_sel:DWORD dst_unused:UNUSED_PAD src0_sel:WORD_0 src1_sel:DWORD
	;; [unrolled: 1-line block ×4, first 2 shown]
	s_cbranch_scc0 .LBB23_4
.LBB23_2:                               ; =>This Inner Loop Header: Depth=1
	s_waitcnt vmcnt(0)
	v_lshrrev_b32_e32 v10, 8, v2
	v_add_u16_e32 v9, v10, v2
	v_add_u16_sdwa v9, v9, v2 dst_sel:DWORD dst_unused:UNUSED_PAD src0_sel:DWORD src1_sel:WORD_1
	v_add_u16_sdwa v9, v9, v2 dst_sel:DWORD dst_unused:UNUSED_PAD src0_sel:DWORD src1_sel:BYTE_3
	v_lshrrev_b32_e32 v8, 8, v3
	v_add_u16_e32 v9, v9, v3
	v_add_u16_e32 v9, v9, v8
	v_add_u16_sdwa v9, v9, v3 dst_sel:DWORD dst_unused:UNUSED_PAD src0_sel:DWORD src1_sel:WORD_1
	v_add_u16_sdwa v9, v9, v3 dst_sel:DWORD dst_unused:UNUSED_PAD src0_sel:DWORD src1_sel:BYTE_3
	v_add_u16_e32 v11, v9, v4
	v_lshrrev_b32_e32 v9, 8, v4
	v_add_u16_e32 v11, v11, v9
	v_add_u16_sdwa v11, v11, v4 dst_sel:DWORD dst_unused:UNUSED_PAD src0_sel:DWORD src1_sel:WORD_1
	v_add_u16_sdwa v11, v11, v4 dst_sel:DWORD dst_unused:UNUSED_PAD src0_sel:DWORD src1_sel:BYTE_3
	v_lshrrev_b32_e32 v0, 8, v5
	v_add_u16_e32 v11, v11, v5
	v_add_u16_e32 v11, v11, v0
	v_add_u16_sdwa v11, v11, v5 dst_sel:DWORD dst_unused:UNUSED_PAD src0_sel:DWORD src1_sel:WORD_1
	v_add_u16_sdwa v11, v11, v5 dst_sel:DWORD dst_unused:UNUSED_PAD src0_sel:DWORD src1_sel:BYTE_3
	v_and_b32_e32 v12, 0xff, v11
	s_nop 1
	v_mov_b32_dpp v12, v12 row_shr:1 row_mask:0xf bank_mask:0xf
	v_cndmask_b32_e64 v12, v12, 0, vcc
	v_add_u16_e32 v11, v11, v12
	v_and_b32_e32 v12, 0xff, v11
	s_nop 1
	v_mov_b32_dpp v12, v12 row_shr:2 row_mask:0xf bank_mask:0xf
	v_cndmask_b32_e64 v12, 0, v12, s[0:1]
	v_add_u16_e32 v11, v11, v12
	v_and_b32_e32 v12, 0xff, v11
	s_nop 1
	v_mov_b32_dpp v12, v12 row_shr:4 row_mask:0xf bank_mask:0xf
	v_cndmask_b32_e64 v12, 0, v12, s[2:3]
	;; [unrolled: 5-line block ×3, first 2 shown]
	v_add_u16_e32 v11, v11, v12
	v_and_b32_e32 v12, 0xff, v11
	s_nop 1
	v_mov_b32_dpp v12, v12 row_bcast:15 row_mask:0xf bank_mask:0xf
	v_cndmask_b32_e64 v12, v12, 0, s[6:7]
	v_add_u16_e32 v11, v11, v12
	v_and_b32_e32 v12, 0xff, v11
	s_nop 1
	v_mov_b32_dpp v12, v12 row_bcast:31 row_mask:0xf bank_mask:0xf
	v_cndmask_b32_e64 v12, 0, v12, s[8:9]
	v_add_u16_e32 v11, v11, v12
	s_and_saveexec_b64 s[16:17], s[10:11]
	s_cbranch_execz .LBB23_1
; %bb.3:                                ;   in Loop: Header=BB23_2 Depth=1
	ds_write_b8 v7, v11
	s_branch .LBB23_1
.LBB23_4:
	v_lshl_add_u64 v[4:5], s[14:15], 0, v[6:7]
	v_or_b32_sdwa v3, v13, v14 dst_sel:DWORD dst_unused:UNUSED_PAD src0_sel:WORD_0 src1_sel:DWORD
	v_or_b32_sdwa v2, v11, v12 dst_sel:DWORD dst_unused:UNUSED_PAD src0_sel:WORD_0 src1_sel:DWORD
	;; [unrolled: 1-line block ×4, first 2 shown]
	global_store_dwordx4 v[4:5], v[0:3], off
	s_endpgm
	.section	.rodata,"a",@progbits
	.p2align	6, 0x0
	.amdhsa_kernel _Z6kernelI14inclusive_scanILN6hipcub18BlockScanAlgorithmE1EEhLj64ELj16ELj100EEvPKT0_PS4_S4_
		.amdhsa_group_segment_fixed_size 1
		.amdhsa_private_segment_fixed_size 0
		.amdhsa_kernarg_size 280
		.amdhsa_user_sgpr_count 2
		.amdhsa_user_sgpr_dispatch_ptr 0
		.amdhsa_user_sgpr_queue_ptr 0
		.amdhsa_user_sgpr_kernarg_segment_ptr 1
		.amdhsa_user_sgpr_dispatch_id 0
		.amdhsa_user_sgpr_kernarg_preload_length 0
		.amdhsa_user_sgpr_kernarg_preload_offset 0
		.amdhsa_user_sgpr_private_segment_size 0
		.amdhsa_uses_dynamic_stack 0
		.amdhsa_enable_private_segment 0
		.amdhsa_system_sgpr_workgroup_id_x 1
		.amdhsa_system_sgpr_workgroup_id_y 0
		.amdhsa_system_sgpr_workgroup_id_z 0
		.amdhsa_system_sgpr_workgroup_info 0
		.amdhsa_system_vgpr_workitem_id 0
		.amdhsa_next_free_vgpr 20
		.amdhsa_next_free_sgpr 19
		.amdhsa_accum_offset 20
		.amdhsa_reserve_vcc 1
		.amdhsa_float_round_mode_32 0
		.amdhsa_float_round_mode_16_64 0
		.amdhsa_float_denorm_mode_32 3
		.amdhsa_float_denorm_mode_16_64 3
		.amdhsa_dx10_clamp 1
		.amdhsa_ieee_mode 1
		.amdhsa_fp16_overflow 0
		.amdhsa_tg_split 0
		.amdhsa_exception_fp_ieee_invalid_op 0
		.amdhsa_exception_fp_denorm_src 0
		.amdhsa_exception_fp_ieee_div_zero 0
		.amdhsa_exception_fp_ieee_overflow 0
		.amdhsa_exception_fp_ieee_underflow 0
		.amdhsa_exception_fp_ieee_inexact 0
		.amdhsa_exception_int_div_zero 0
	.end_amdhsa_kernel
	.section	.text._Z6kernelI14inclusive_scanILN6hipcub18BlockScanAlgorithmE1EEhLj64ELj16ELj100EEvPKT0_PS4_S4_,"axG",@progbits,_Z6kernelI14inclusive_scanILN6hipcub18BlockScanAlgorithmE1EEhLj64ELj16ELj100EEvPKT0_PS4_S4_,comdat
.Lfunc_end23:
	.size	_Z6kernelI14inclusive_scanILN6hipcub18BlockScanAlgorithmE1EEhLj64ELj16ELj100EEvPKT0_PS4_S4_, .Lfunc_end23-_Z6kernelI14inclusive_scanILN6hipcub18BlockScanAlgorithmE1EEhLj64ELj16ELj100EEvPKT0_PS4_S4_
                                        ; -- End function
	.section	.AMDGPU.csdata,"",@progbits
; Kernel info:
; codeLenInByte = 820
; NumSgprs: 25
; NumVgprs: 20
; NumAgprs: 0
; TotalNumVgprs: 20
; ScratchSize: 0
; MemoryBound: 0
; FloatMode: 240
; IeeeMode: 1
; LDSByteSize: 1 bytes/workgroup (compile time only)
; SGPRBlocks: 3
; VGPRBlocks: 2
; NumSGPRsForWavesPerEU: 25
; NumVGPRsForWavesPerEU: 20
; AccumOffset: 20
; Occupancy: 8
; WaveLimiterHint : 0
; COMPUTE_PGM_RSRC2:SCRATCH_EN: 0
; COMPUTE_PGM_RSRC2:USER_SGPR: 2
; COMPUTE_PGM_RSRC2:TRAP_HANDLER: 0
; COMPUTE_PGM_RSRC2:TGID_X_EN: 1
; COMPUTE_PGM_RSRC2:TGID_Y_EN: 0
; COMPUTE_PGM_RSRC2:TGID_Z_EN: 0
; COMPUTE_PGM_RSRC2:TIDIG_COMP_CNT: 0
; COMPUTE_PGM_RSRC3_GFX90A:ACCUM_OFFSET: 4
; COMPUTE_PGM_RSRC3_GFX90A:TG_SPLIT: 0
	.section	.text._Z6kernelI14inclusive_scanILN6hipcub18BlockScanAlgorithmE1EEiLj256ELj1ELj100EEvPKT0_PS4_S4_,"axG",@progbits,_Z6kernelI14inclusive_scanILN6hipcub18BlockScanAlgorithmE1EEiLj256ELj1ELj100EEvPKT0_PS4_S4_,comdat
	.protected	_Z6kernelI14inclusive_scanILN6hipcub18BlockScanAlgorithmE1EEiLj256ELj1ELj100EEvPKT0_PS4_S4_ ; -- Begin function _Z6kernelI14inclusive_scanILN6hipcub18BlockScanAlgorithmE1EEiLj256ELj1ELj100EEvPKT0_PS4_S4_
	.globl	_Z6kernelI14inclusive_scanILN6hipcub18BlockScanAlgorithmE1EEiLj256ELj1ELj100EEvPKT0_PS4_S4_
	.p2align	8
	.type	_Z6kernelI14inclusive_scanILN6hipcub18BlockScanAlgorithmE1EEiLj256ELj1ELj100EEvPKT0_PS4_S4_,@function
_Z6kernelI14inclusive_scanILN6hipcub18BlockScanAlgorithmE1EEiLj256ELj1ELj100EEvPKT0_PS4_S4_: ; @_Z6kernelI14inclusive_scanILN6hipcub18BlockScanAlgorithmE1EEiLj256ELj1ELj100EEvPKT0_PS4_S4_
; %bb.0:
	s_load_dwordx4 s[4:7], s[0:1], 0x0
	s_load_dword s3, s[0:1], 0x24
	v_mov_b32_e32 v3, 0
	v_lshrrev_b32_e32 v1, 5, v0
	v_add_lshl_u32 v1, v1, v0, 2
	s_waitcnt lgkmcnt(0)
	v_mov_b32_e32 v4, s4
	s_and_b32 s0, s3, 0xffff
	s_mul_i32 s2, s2, s0
	v_mov_b32_e32 v5, s5
	v_add_u32_e32 v2, s2, v0
	v_lshl_add_u64 v[4:5], v[2:3], 2, v[4:5]
	global_load_dword v4, v[4:5], off
	v_cmp_gt_u32_e32 vcc, 64, v0
	v_lshlrev_b32_e32 v5, 2, v0
	v_lshrrev_b32_e32 v6, 3, v0
	v_cmp_eq_u32_e64 s[0:1], 0, v0
	v_mbcnt_lo_u32_b32 v0, -1, 0
	v_mbcnt_hi_u32_b32 v0, -1, v0
	v_add_lshl_u32 v5, v6, v5, 2
	s_movk_i32 s8, 0x64
	v_and_b32_e32 v6, 15, v0
	v_bfe_i32 v7, v0, 4, 1
	v_add_u32_e32 v8, -1, v0
	v_and_b32_e32 v9, 64, v0
	s_branch .LBB24_2
.LBB24_1:                               ;   in Loop: Header=BB24_2 Depth=1
	s_or_b64 exec, exec, s[4:5]
	s_waitcnt lgkmcnt(0)
	s_barrier
	ds_read_b32 v4, v1
	s_add_i32 s8, s8, -1
	s_cmp_lg_u32 s8, 0
	s_cbranch_scc0 .LBB24_4
.LBB24_2:                               ; =>This Inner Loop Header: Depth=1
	s_waitcnt vmcnt(0) lgkmcnt(0)
	ds_write_b32 v1, v4
	s_waitcnt lgkmcnt(0)
	s_barrier
	s_and_saveexec_b64 s[4:5], vcc
	s_cbranch_execz .LBB24_1
; %bb.3:                                ;   in Loop: Header=BB24_2 Depth=1
	ds_read2_b32 v[10:11], v5 offset1:1
	ds_read2_b32 v[12:13], v5 offset0:2 offset1:3
	v_cmp_ne_u32_e64 s[2:3], 0, v6
	s_waitcnt lgkmcnt(1)
	v_add_u32_e32 v14, v11, v10
	s_waitcnt lgkmcnt(0)
	v_add3_u32 v14, v14, v12, v13
	s_nop 1
	v_mov_b32_dpp v15, v14 row_shr:1 row_mask:0xf bank_mask:0xf
	v_cndmask_b32_e64 v15, 0, v15, s[2:3]
	v_add_u32_e32 v14, v15, v14
	v_cmp_lt_u32_e64 s[2:3], 1, v6
	s_nop 0
	v_mov_b32_dpp v15, v14 row_shr:2 row_mask:0xf bank_mask:0xf
	v_cndmask_b32_e64 v15, 0, v15, s[2:3]
	v_add_u32_e32 v14, v14, v15
	v_cmp_lt_u32_e64 s[2:3], 3, v6
	;; [unrolled: 5-line block ×4, first 2 shown]
	s_nop 0
	v_mov_b32_dpp v15, v14 row_bcast:15 row_mask:0xf bank_mask:0xf
	v_and_b32_e32 v15, v7, v15
	v_add_u32_e32 v14, v14, v15
	s_nop 1
	v_mov_b32_dpp v15, v14 row_bcast:31 row_mask:0xf bank_mask:0xf
	v_cndmask_b32_e64 v15, 0, v15, s[2:3]
	v_cmp_lt_i32_e64 s[2:3], v8, v9
	v_add_u32_e32 v14, v14, v15
	s_nop 0
	v_cndmask_b32_e64 v15, v8, v0, s[2:3]
	v_lshlrev_b32_e32 v15, 2, v15
	ds_bpermute_b32 v14, v15, v14
	s_waitcnt lgkmcnt(0)
	v_add_u32_e32 v10, v14, v10
	v_cndmask_b32_e64 v4, v10, v4, s[0:1]
	v_add_u32_e32 v10, v4, v11
	ds_write2_b32 v5, v4, v10 offset1:1
	v_add_u32_e32 v4, v10, v12
	v_add_u32_e32 v10, v4, v13
	ds_write2_b32 v5, v4, v10 offset0:2 offset1:3
	s_branch .LBB24_1
.LBB24_4:
	v_mov_b32_e32 v0, s6
	v_mov_b32_e32 v1, s7
	v_lshl_add_u64 v[0:1], v[2:3], 2, v[0:1]
	s_waitcnt lgkmcnt(0)
	global_store_dword v[0:1], v4, off
	s_endpgm
	.section	.rodata,"a",@progbits
	.p2align	6, 0x0
	.amdhsa_kernel _Z6kernelI14inclusive_scanILN6hipcub18BlockScanAlgorithmE1EEiLj256ELj1ELj100EEvPKT0_PS4_S4_
		.amdhsa_group_segment_fixed_size 1056
		.amdhsa_private_segment_fixed_size 0
		.amdhsa_kernarg_size 280
		.amdhsa_user_sgpr_count 2
		.amdhsa_user_sgpr_dispatch_ptr 0
		.amdhsa_user_sgpr_queue_ptr 0
		.amdhsa_user_sgpr_kernarg_segment_ptr 1
		.amdhsa_user_sgpr_dispatch_id 0
		.amdhsa_user_sgpr_kernarg_preload_length 0
		.amdhsa_user_sgpr_kernarg_preload_offset 0
		.amdhsa_user_sgpr_private_segment_size 0
		.amdhsa_uses_dynamic_stack 0
		.amdhsa_enable_private_segment 0
		.amdhsa_system_sgpr_workgroup_id_x 1
		.amdhsa_system_sgpr_workgroup_id_y 0
		.amdhsa_system_sgpr_workgroup_id_z 0
		.amdhsa_system_sgpr_workgroup_info 0
		.amdhsa_system_vgpr_workitem_id 0
		.amdhsa_next_free_vgpr 16
		.amdhsa_next_free_sgpr 9
		.amdhsa_accum_offset 16
		.amdhsa_reserve_vcc 1
		.amdhsa_float_round_mode_32 0
		.amdhsa_float_round_mode_16_64 0
		.amdhsa_float_denorm_mode_32 3
		.amdhsa_float_denorm_mode_16_64 3
		.amdhsa_dx10_clamp 1
		.amdhsa_ieee_mode 1
		.amdhsa_fp16_overflow 0
		.amdhsa_tg_split 0
		.amdhsa_exception_fp_ieee_invalid_op 0
		.amdhsa_exception_fp_denorm_src 0
		.amdhsa_exception_fp_ieee_div_zero 0
		.amdhsa_exception_fp_ieee_overflow 0
		.amdhsa_exception_fp_ieee_underflow 0
		.amdhsa_exception_fp_ieee_inexact 0
		.amdhsa_exception_int_div_zero 0
	.end_amdhsa_kernel
	.section	.text._Z6kernelI14inclusive_scanILN6hipcub18BlockScanAlgorithmE1EEiLj256ELj1ELj100EEvPKT0_PS4_S4_,"axG",@progbits,_Z6kernelI14inclusive_scanILN6hipcub18BlockScanAlgorithmE1EEiLj256ELj1ELj100EEvPKT0_PS4_S4_,comdat
.Lfunc_end24:
	.size	_Z6kernelI14inclusive_scanILN6hipcub18BlockScanAlgorithmE1EEiLj256ELj1ELj100EEvPKT0_PS4_S4_, .Lfunc_end24-_Z6kernelI14inclusive_scanILN6hipcub18BlockScanAlgorithmE1EEiLj256ELj1ELj100EEvPKT0_PS4_S4_
                                        ; -- End function
	.section	.AMDGPU.csdata,"",@progbits
; Kernel info:
; codeLenInByte = 536
; NumSgprs: 15
; NumVgprs: 16
; NumAgprs: 0
; TotalNumVgprs: 16
; ScratchSize: 0
; MemoryBound: 0
; FloatMode: 240
; IeeeMode: 1
; LDSByteSize: 1056 bytes/workgroup (compile time only)
; SGPRBlocks: 1
; VGPRBlocks: 1
; NumSGPRsForWavesPerEU: 15
; NumVGPRsForWavesPerEU: 16
; AccumOffset: 16
; Occupancy: 8
; WaveLimiterHint : 0
; COMPUTE_PGM_RSRC2:SCRATCH_EN: 0
; COMPUTE_PGM_RSRC2:USER_SGPR: 2
; COMPUTE_PGM_RSRC2:TRAP_HANDLER: 0
; COMPUTE_PGM_RSRC2:TGID_X_EN: 1
; COMPUTE_PGM_RSRC2:TGID_Y_EN: 0
; COMPUTE_PGM_RSRC2:TGID_Z_EN: 0
; COMPUTE_PGM_RSRC2:TIDIG_COMP_CNT: 0
; COMPUTE_PGM_RSRC3_GFX90A:ACCUM_OFFSET: 3
; COMPUTE_PGM_RSRC3_GFX90A:TG_SPLIT: 0
	.section	.text._Z6kernelI14inclusive_scanILN6hipcub18BlockScanAlgorithmE1EEiLj256ELj3ELj100EEvPKT0_PS4_S4_,"axG",@progbits,_Z6kernelI14inclusive_scanILN6hipcub18BlockScanAlgorithmE1EEiLj256ELj3ELj100EEvPKT0_PS4_S4_,comdat
	.protected	_Z6kernelI14inclusive_scanILN6hipcub18BlockScanAlgorithmE1EEiLj256ELj3ELj100EEvPKT0_PS4_S4_ ; -- Begin function _Z6kernelI14inclusive_scanILN6hipcub18BlockScanAlgorithmE1EEiLj256ELj3ELj100EEvPKT0_PS4_S4_
	.globl	_Z6kernelI14inclusive_scanILN6hipcub18BlockScanAlgorithmE1EEiLj256ELj3ELj100EEvPKT0_PS4_S4_
	.p2align	8
	.type	_Z6kernelI14inclusive_scanILN6hipcub18BlockScanAlgorithmE1EEiLj256ELj3ELj100EEvPKT0_PS4_S4_,@function
_Z6kernelI14inclusive_scanILN6hipcub18BlockScanAlgorithmE1EEiLj256ELj3ELj100EEvPKT0_PS4_S4_: ; @_Z6kernelI14inclusive_scanILN6hipcub18BlockScanAlgorithmE1EEiLj256ELj3ELj100EEvPKT0_PS4_S4_
; %bb.0:
	s_load_dword s3, s[0:1], 0x24
	s_load_dwordx4 s[4:7], s[0:1], 0x0
	v_mov_b32_e32 v3, 0
	v_mov_b32_e32 v5, v3
	;; [unrolled: 1-line block ×3, first 2 shown]
	s_waitcnt lgkmcnt(0)
	s_and_b32 s0, s3, 0xffff
	s_mul_i32 s2, s2, s0
	v_add_u32_e32 v1, s2, v0
	v_lshl_add_u32 v2, v1, 1, v1
	v_lshl_add_u64 v[10:11], v[2:3], 2, s[4:5]
	v_add_u32_e32 v4, 1, v2
	v_add_u32_e32 v6, 2, v2
	v_lshl_add_u64 v[12:13], v[4:5], 2, s[4:5]
	v_lshl_add_u64 v[14:15], v[6:7], 2, s[4:5]
	global_load_dword v9, v[10:11], off
	global_load_dword v8, v[12:13], off
	;; [unrolled: 1-line block ×3, first 2 shown]
	v_lshrrev_b32_e32 v10, 5, v0
	v_add_lshl_u32 v10, v10, v0, 2
	v_cmp_gt_u32_e32 vcc, 64, v0
	v_cmp_eq_u32_e64 s[0:1], 0, v0
	v_cmp_ne_u32_e64 s[2:3], 0, v0
	v_lshlrev_b32_e32 v11, 2, v0
	v_lshrrev_b32_e32 v12, 3, v0
	v_add_u32_e32 v0, -1, v0
	v_add_lshl_u32 v11, v12, v11, 2
	v_lshrrev_b32_e32 v12, 5, v0
	v_add_lshl_u32 v0, v12, v0, 2
	v_mbcnt_lo_u32_b32 v12, -1, 0
	v_mbcnt_hi_u32_b32 v12, -1, v12
	s_movk_i32 s10, 0x64
	v_and_b32_e32 v13, 15, v12
	v_bfe_i32 v14, v12, 4, 1
	v_add_u32_e32 v15, -1, v12
	v_and_b32_e32 v16, 64, v12
	s_branch .LBB25_2
.LBB25_1:                               ;   in Loop: Header=BB25_2 Depth=1
	s_or_b64 exec, exec, s[4:5]
	s_waitcnt lgkmcnt(0)
	v_add_u32_e32 v9, v17, v9
	v_add_u32_e32 v8, v9, v8
	s_add_i32 s10, s10, -1
	s_cmp_lg_u32 s10, 0
	v_add_u32_e32 v1, v8, v1
	s_cbranch_scc0 .LBB25_6
.LBB25_2:                               ; =>This Inner Loop Header: Depth=1
	s_waitcnt vmcnt(0)
	v_add3_u32 v17, v8, v9, v1
	ds_write_b32 v10, v17
	s_waitcnt lgkmcnt(0)
	s_barrier
	s_and_saveexec_b64 s[8:9], vcc
	s_cbranch_execz .LBB25_4
; %bb.3:                                ;   in Loop: Header=BB25_2 Depth=1
	ds_read2_b32 v[18:19], v11 offset1:1
	ds_read2_b32 v[20:21], v11 offset0:2 offset1:3
	v_cmp_ne_u32_e64 s[4:5], 0, v13
	s_waitcnt lgkmcnt(1)
	v_add_u32_e32 v22, v19, v18
	s_waitcnt lgkmcnt(0)
	v_add3_u32 v22, v22, v20, v21
	s_nop 1
	v_mov_b32_dpp v23, v22 row_shr:1 row_mask:0xf bank_mask:0xf
	v_cndmask_b32_e64 v23, 0, v23, s[4:5]
	v_add_u32_e32 v22, v23, v22
	v_cmp_lt_u32_e64 s[4:5], 1, v13
	s_nop 0
	v_mov_b32_dpp v23, v22 row_shr:2 row_mask:0xf bank_mask:0xf
	v_cndmask_b32_e64 v23, 0, v23, s[4:5]
	v_add_u32_e32 v22, v22, v23
	v_cmp_lt_u32_e64 s[4:5], 3, v13
	;; [unrolled: 5-line block ×4, first 2 shown]
	s_nop 0
	v_mov_b32_dpp v23, v22 row_bcast:15 row_mask:0xf bank_mask:0xf
	v_and_b32_e32 v23, v14, v23
	v_add_u32_e32 v22, v22, v23
	s_nop 1
	v_mov_b32_dpp v23, v22 row_bcast:31 row_mask:0xf bank_mask:0xf
	v_cndmask_b32_e64 v23, 0, v23, s[4:5]
	v_cmp_lt_i32_e64 s[4:5], v15, v16
	v_add_u32_e32 v22, v22, v23
	s_nop 0
	v_cndmask_b32_e64 v23, v15, v12, s[4:5]
	v_lshlrev_b32_e32 v23, 2, v23
	ds_bpermute_b32 v22, v23, v22
	s_waitcnt lgkmcnt(0)
	v_add_u32_e32 v18, v22, v18
	v_cndmask_b32_e64 v17, v18, v17, s[0:1]
	v_add_u32_e32 v18, v17, v19
	ds_write2_b32 v11, v17, v18 offset1:1
	v_add_u32_e32 v17, v18, v20
	v_add_u32_e32 v18, v17, v21
	ds_write2_b32 v11, v17, v18 offset0:2 offset1:3
.LBB25_4:                               ;   in Loop: Header=BB25_2 Depth=1
	s_or_b64 exec, exec, s[8:9]
	v_mov_b32_e32 v17, 0
	s_waitcnt lgkmcnt(0)
	s_barrier
	s_and_saveexec_b64 s[4:5], s[2:3]
	s_cbranch_execz .LBB25_1
; %bb.5:                                ;   in Loop: Header=BB25_2 Depth=1
	ds_read_b32 v17, v0
	s_branch .LBB25_1
.LBB25_6:
	v_lshl_add_u64 v[2:3], v[2:3], 2, s[6:7]
	global_store_dword v[2:3], v9, off
	v_lshl_add_u64 v[2:3], v[4:5], 2, s[6:7]
	global_store_dword v[2:3], v8, off
	;; [unrolled: 2-line block ×3, first 2 shown]
	s_endpgm
	.section	.rodata,"a",@progbits
	.p2align	6, 0x0
	.amdhsa_kernel _Z6kernelI14inclusive_scanILN6hipcub18BlockScanAlgorithmE1EEiLj256ELj3ELj100EEvPKT0_PS4_S4_
		.amdhsa_group_segment_fixed_size 1056
		.amdhsa_private_segment_fixed_size 0
		.amdhsa_kernarg_size 280
		.amdhsa_user_sgpr_count 2
		.amdhsa_user_sgpr_dispatch_ptr 0
		.amdhsa_user_sgpr_queue_ptr 0
		.amdhsa_user_sgpr_kernarg_segment_ptr 1
		.amdhsa_user_sgpr_dispatch_id 0
		.amdhsa_user_sgpr_kernarg_preload_length 0
		.amdhsa_user_sgpr_kernarg_preload_offset 0
		.amdhsa_user_sgpr_private_segment_size 0
		.amdhsa_uses_dynamic_stack 0
		.amdhsa_enable_private_segment 0
		.amdhsa_system_sgpr_workgroup_id_x 1
		.amdhsa_system_sgpr_workgroup_id_y 0
		.amdhsa_system_sgpr_workgroup_id_z 0
		.amdhsa_system_sgpr_workgroup_info 0
		.amdhsa_system_vgpr_workitem_id 0
		.amdhsa_next_free_vgpr 24
		.amdhsa_next_free_sgpr 11
		.amdhsa_accum_offset 24
		.amdhsa_reserve_vcc 1
		.amdhsa_float_round_mode_32 0
		.amdhsa_float_round_mode_16_64 0
		.amdhsa_float_denorm_mode_32 3
		.amdhsa_float_denorm_mode_16_64 3
		.amdhsa_dx10_clamp 1
		.amdhsa_ieee_mode 1
		.amdhsa_fp16_overflow 0
		.amdhsa_tg_split 0
		.amdhsa_exception_fp_ieee_invalid_op 0
		.amdhsa_exception_fp_denorm_src 0
		.amdhsa_exception_fp_ieee_div_zero 0
		.amdhsa_exception_fp_ieee_overflow 0
		.amdhsa_exception_fp_ieee_underflow 0
		.amdhsa_exception_fp_ieee_inexact 0
		.amdhsa_exception_int_div_zero 0
	.end_amdhsa_kernel
	.section	.text._Z6kernelI14inclusive_scanILN6hipcub18BlockScanAlgorithmE1EEiLj256ELj3ELj100EEvPKT0_PS4_S4_,"axG",@progbits,_Z6kernelI14inclusive_scanILN6hipcub18BlockScanAlgorithmE1EEiLj256ELj3ELj100EEvPKT0_PS4_S4_,comdat
.Lfunc_end25:
	.size	_Z6kernelI14inclusive_scanILN6hipcub18BlockScanAlgorithmE1EEiLj256ELj3ELj100EEvPKT0_PS4_S4_, .Lfunc_end25-_Z6kernelI14inclusive_scanILN6hipcub18BlockScanAlgorithmE1EEiLj256ELj3ELj100EEvPKT0_PS4_S4_
                                        ; -- End function
	.section	.AMDGPU.csdata,"",@progbits
; Kernel info:
; codeLenInByte = 668
; NumSgprs: 17
; NumVgprs: 24
; NumAgprs: 0
; TotalNumVgprs: 24
; ScratchSize: 0
; MemoryBound: 0
; FloatMode: 240
; IeeeMode: 1
; LDSByteSize: 1056 bytes/workgroup (compile time only)
; SGPRBlocks: 2
; VGPRBlocks: 2
; NumSGPRsForWavesPerEU: 17
; NumVGPRsForWavesPerEU: 24
; AccumOffset: 24
; Occupancy: 8
; WaveLimiterHint : 0
; COMPUTE_PGM_RSRC2:SCRATCH_EN: 0
; COMPUTE_PGM_RSRC2:USER_SGPR: 2
; COMPUTE_PGM_RSRC2:TRAP_HANDLER: 0
; COMPUTE_PGM_RSRC2:TGID_X_EN: 1
; COMPUTE_PGM_RSRC2:TGID_Y_EN: 0
; COMPUTE_PGM_RSRC2:TGID_Z_EN: 0
; COMPUTE_PGM_RSRC2:TIDIG_COMP_CNT: 0
; COMPUTE_PGM_RSRC3_GFX90A:ACCUM_OFFSET: 5
; COMPUTE_PGM_RSRC3_GFX90A:TG_SPLIT: 0
	.section	.text._Z6kernelI14inclusive_scanILN6hipcub18BlockScanAlgorithmE1EEiLj256ELj4ELj100EEvPKT0_PS4_S4_,"axG",@progbits,_Z6kernelI14inclusive_scanILN6hipcub18BlockScanAlgorithmE1EEiLj256ELj4ELj100EEvPKT0_PS4_S4_,comdat
	.protected	_Z6kernelI14inclusive_scanILN6hipcub18BlockScanAlgorithmE1EEiLj256ELj4ELj100EEvPKT0_PS4_S4_ ; -- Begin function _Z6kernelI14inclusive_scanILN6hipcub18BlockScanAlgorithmE1EEiLj256ELj4ELj100EEvPKT0_PS4_S4_
	.globl	_Z6kernelI14inclusive_scanILN6hipcub18BlockScanAlgorithmE1EEiLj256ELj4ELj100EEvPKT0_PS4_S4_
	.p2align	8
	.type	_Z6kernelI14inclusive_scanILN6hipcub18BlockScanAlgorithmE1EEiLj256ELj4ELj100EEvPKT0_PS4_S4_,@function
_Z6kernelI14inclusive_scanILN6hipcub18BlockScanAlgorithmE1EEiLj256ELj4ELj100EEvPKT0_PS4_S4_: ; @_Z6kernelI14inclusive_scanILN6hipcub18BlockScanAlgorithmE1EEiLj256ELj4ELj100EEvPKT0_PS4_S4_
; %bb.0:
	s_load_dwordx4 s[4:7], s[0:1], 0x0
	s_load_dword s3, s[0:1], 0x24
	v_mov_b32_e32 v7, 0
	v_lshrrev_b32_e32 v1, 5, v0
	v_add_lshl_u32 v1, v1, v0, 2
	s_waitcnt lgkmcnt(0)
	v_mov_b32_e32 v2, s4
	s_and_b32 s0, s3, 0xffff
	s_mul_i32 s2, s2, s0
	v_mov_b32_e32 v3, s5
	v_add_lshl_u32 v6, s2, v0, 2
	v_lshl_add_u64 v[2:3], v[6:7], 2, v[2:3]
	global_load_dwordx4 v[2:5], v[2:3], off
	v_cmp_gt_u32_e32 vcc, 64, v0
	v_cmp_eq_u32_e64 s[0:1], 0, v0
	v_cmp_ne_u32_e64 s[2:3], 0, v0
	v_lshlrev_b32_e32 v8, 2, v0
	v_lshrrev_b32_e32 v9, 3, v0
	v_add_u32_e32 v0, -1, v0
	v_add_lshl_u32 v8, v9, v8, 2
	v_lshrrev_b32_e32 v9, 5, v0
	v_add_lshl_u32 v0, v9, v0, 2
	v_mbcnt_lo_u32_b32 v9, -1, 0
	v_mbcnt_hi_u32_b32 v9, -1, v9
	s_movk_i32 s10, 0x64
	v_and_b32_e32 v10, 15, v9
	v_bfe_i32 v11, v9, 4, 1
	v_add_u32_e32 v12, -1, v9
	v_and_b32_e32 v13, 64, v9
	s_branch .LBB26_2
.LBB26_1:                               ;   in Loop: Header=BB26_2 Depth=1
	s_or_b64 exec, exec, s[4:5]
	s_waitcnt lgkmcnt(0)
	v_add_u32_e32 v2, v14, v2
	v_add_u32_e32 v3, v2, v3
	;; [unrolled: 1-line block ×3, first 2 shown]
	s_add_i32 s10, s10, -1
	s_cmp_lg_u32 s10, 0
	v_add_u32_e32 v5, v4, v5
	s_cbranch_scc0 .LBB26_6
.LBB26_2:                               ; =>This Inner Loop Header: Depth=1
	s_waitcnt vmcnt(0)
	v_add_u32_e32 v14, v3, v2
	v_add3_u32 v14, v14, v4, v5
	ds_write_b32 v1, v14
	s_waitcnt lgkmcnt(0)
	s_barrier
	s_and_saveexec_b64 s[8:9], vcc
	s_cbranch_execz .LBB26_4
; %bb.3:                                ;   in Loop: Header=BB26_2 Depth=1
	ds_read2_b32 v[16:17], v8 offset1:1
	ds_read2_b32 v[18:19], v8 offset0:2 offset1:3
	v_cmp_ne_u32_e64 s[4:5], 0, v10
	s_waitcnt lgkmcnt(1)
	v_add_u32_e32 v15, v17, v16
	s_waitcnt lgkmcnt(0)
	v_add3_u32 v15, v15, v18, v19
	s_nop 1
	v_mov_b32_dpp v20, v15 row_shr:1 row_mask:0xf bank_mask:0xf
	v_cndmask_b32_e64 v20, 0, v20, s[4:5]
	v_add_u32_e32 v15, v20, v15
	v_cmp_lt_u32_e64 s[4:5], 1, v10
	s_nop 0
	v_mov_b32_dpp v20, v15 row_shr:2 row_mask:0xf bank_mask:0xf
	v_cndmask_b32_e64 v20, 0, v20, s[4:5]
	v_add_u32_e32 v15, v15, v20
	v_cmp_lt_u32_e64 s[4:5], 3, v10
	;; [unrolled: 5-line block ×4, first 2 shown]
	s_nop 0
	v_mov_b32_dpp v20, v15 row_bcast:15 row_mask:0xf bank_mask:0xf
	v_and_b32_e32 v20, v11, v20
	v_add_u32_e32 v15, v15, v20
	s_nop 1
	v_mov_b32_dpp v20, v15 row_bcast:31 row_mask:0xf bank_mask:0xf
	v_cndmask_b32_e64 v20, 0, v20, s[4:5]
	v_cmp_lt_i32_e64 s[4:5], v12, v13
	v_add_u32_e32 v15, v15, v20
	s_nop 0
	v_cndmask_b32_e64 v20, v12, v9, s[4:5]
	v_lshlrev_b32_e32 v20, 2, v20
	ds_bpermute_b32 v15, v20, v15
	s_waitcnt lgkmcnt(0)
	v_add_u32_e32 v15, v15, v16
	v_cndmask_b32_e64 v14, v15, v14, s[0:1]
	v_add_u32_e32 v15, v14, v17
	ds_write2_b32 v8, v14, v15 offset1:1
	v_add_u32_e32 v14, v15, v18
	v_add_u32_e32 v15, v14, v19
	ds_write2_b32 v8, v14, v15 offset0:2 offset1:3
.LBB26_4:                               ;   in Loop: Header=BB26_2 Depth=1
	s_or_b64 exec, exec, s[8:9]
	v_mov_b32_e32 v14, 0
	s_waitcnt lgkmcnt(0)
	s_barrier
	s_and_saveexec_b64 s[4:5], s[2:3]
	s_cbranch_execz .LBB26_1
; %bb.5:                                ;   in Loop: Header=BB26_2 Depth=1
	ds_read_b32 v14, v0
	s_branch .LBB26_1
.LBB26_6:
	v_mov_b32_e32 v0, s6
	v_mov_b32_e32 v1, s7
	v_lshl_add_u64 v[0:1], v[6:7], 2, v[0:1]
	global_store_dwordx4 v[0:1], v[2:5], off
	s_endpgm
	.section	.rodata,"a",@progbits
	.p2align	6, 0x0
	.amdhsa_kernel _Z6kernelI14inclusive_scanILN6hipcub18BlockScanAlgorithmE1EEiLj256ELj4ELj100EEvPKT0_PS4_S4_
		.amdhsa_group_segment_fixed_size 1056
		.amdhsa_private_segment_fixed_size 0
		.amdhsa_kernarg_size 280
		.amdhsa_user_sgpr_count 2
		.amdhsa_user_sgpr_dispatch_ptr 0
		.amdhsa_user_sgpr_queue_ptr 0
		.amdhsa_user_sgpr_kernarg_segment_ptr 1
		.amdhsa_user_sgpr_dispatch_id 0
		.amdhsa_user_sgpr_kernarg_preload_length 0
		.amdhsa_user_sgpr_kernarg_preload_offset 0
		.amdhsa_user_sgpr_private_segment_size 0
		.amdhsa_uses_dynamic_stack 0
		.amdhsa_enable_private_segment 0
		.amdhsa_system_sgpr_workgroup_id_x 1
		.amdhsa_system_sgpr_workgroup_id_y 0
		.amdhsa_system_sgpr_workgroup_id_z 0
		.amdhsa_system_sgpr_workgroup_info 0
		.amdhsa_system_vgpr_workitem_id 0
		.amdhsa_next_free_vgpr 21
		.amdhsa_next_free_sgpr 11
		.amdhsa_accum_offset 24
		.amdhsa_reserve_vcc 1
		.amdhsa_float_round_mode_32 0
		.amdhsa_float_round_mode_16_64 0
		.amdhsa_float_denorm_mode_32 3
		.amdhsa_float_denorm_mode_16_64 3
		.amdhsa_dx10_clamp 1
		.amdhsa_ieee_mode 1
		.amdhsa_fp16_overflow 0
		.amdhsa_tg_split 0
		.amdhsa_exception_fp_ieee_invalid_op 0
		.amdhsa_exception_fp_denorm_src 0
		.amdhsa_exception_fp_ieee_div_zero 0
		.amdhsa_exception_fp_ieee_overflow 0
		.amdhsa_exception_fp_ieee_underflow 0
		.amdhsa_exception_fp_ieee_inexact 0
		.amdhsa_exception_int_div_zero 0
	.end_amdhsa_kernel
	.section	.text._Z6kernelI14inclusive_scanILN6hipcub18BlockScanAlgorithmE1EEiLj256ELj4ELj100EEvPKT0_PS4_S4_,"axG",@progbits,_Z6kernelI14inclusive_scanILN6hipcub18BlockScanAlgorithmE1EEiLj256ELj4ELj100EEvPKT0_PS4_S4_,comdat
.Lfunc_end26:
	.size	_Z6kernelI14inclusive_scanILN6hipcub18BlockScanAlgorithmE1EEiLj256ELj4ELj100EEvPKT0_PS4_S4_, .Lfunc_end26-_Z6kernelI14inclusive_scanILN6hipcub18BlockScanAlgorithmE1EEiLj256ELj4ELj100EEvPKT0_PS4_S4_
                                        ; -- End function
	.section	.AMDGPU.csdata,"",@progbits
; Kernel info:
; codeLenInByte = 608
; NumSgprs: 17
; NumVgprs: 21
; NumAgprs: 0
; TotalNumVgprs: 21
; ScratchSize: 0
; MemoryBound: 0
; FloatMode: 240
; IeeeMode: 1
; LDSByteSize: 1056 bytes/workgroup (compile time only)
; SGPRBlocks: 2
; VGPRBlocks: 2
; NumSGPRsForWavesPerEU: 17
; NumVGPRsForWavesPerEU: 21
; AccumOffset: 24
; Occupancy: 8
; WaveLimiterHint : 0
; COMPUTE_PGM_RSRC2:SCRATCH_EN: 0
; COMPUTE_PGM_RSRC2:USER_SGPR: 2
; COMPUTE_PGM_RSRC2:TRAP_HANDLER: 0
; COMPUTE_PGM_RSRC2:TGID_X_EN: 1
; COMPUTE_PGM_RSRC2:TGID_Y_EN: 0
; COMPUTE_PGM_RSRC2:TGID_Z_EN: 0
; COMPUTE_PGM_RSRC2:TIDIG_COMP_CNT: 0
; COMPUTE_PGM_RSRC3_GFX90A:ACCUM_OFFSET: 5
; COMPUTE_PGM_RSRC3_GFX90A:TG_SPLIT: 0
	.section	.text._Z6kernelI14inclusive_scanILN6hipcub18BlockScanAlgorithmE1EEiLj256ELj8ELj100EEvPKT0_PS4_S4_,"axG",@progbits,_Z6kernelI14inclusive_scanILN6hipcub18BlockScanAlgorithmE1EEiLj256ELj8ELj100EEvPKT0_PS4_S4_,comdat
	.protected	_Z6kernelI14inclusive_scanILN6hipcub18BlockScanAlgorithmE1EEiLj256ELj8ELj100EEvPKT0_PS4_S4_ ; -- Begin function _Z6kernelI14inclusive_scanILN6hipcub18BlockScanAlgorithmE1EEiLj256ELj8ELj100EEvPKT0_PS4_S4_
	.globl	_Z6kernelI14inclusive_scanILN6hipcub18BlockScanAlgorithmE1EEiLj256ELj8ELj100EEvPKT0_PS4_S4_
	.p2align	8
	.type	_Z6kernelI14inclusive_scanILN6hipcub18BlockScanAlgorithmE1EEiLj256ELj8ELj100EEvPKT0_PS4_S4_,@function
_Z6kernelI14inclusive_scanILN6hipcub18BlockScanAlgorithmE1EEiLj256ELj8ELj100EEvPKT0_PS4_S4_: ; @_Z6kernelI14inclusive_scanILN6hipcub18BlockScanAlgorithmE1EEiLj256ELj8ELj100EEvPKT0_PS4_S4_
; %bb.0:
	s_load_dwordx4 s[4:7], s[0:1], 0x0
	s_load_dword s3, s[0:1], 0x24
	v_mov_b32_e32 v11, 0
	v_lshrrev_b32_e32 v1, 5, v0
	v_add_lshl_u32 v1, v1, v0, 2
	s_waitcnt lgkmcnt(0)
	v_mov_b32_e32 v2, s4
	s_and_b32 s0, s3, 0xffff
	s_mul_i32 s2, s2, s0
	v_mov_b32_e32 v3, s5
	v_add_lshl_u32 v10, s2, v0, 3
	v_lshl_add_u64 v[12:13], v[10:11], 2, v[2:3]
	global_load_dwordx4 v[6:9], v[12:13], off
	global_load_dwordx4 v[2:5], v[12:13], off offset:16
	v_cmp_gt_u32_e32 vcc, 64, v0
	v_cmp_eq_u32_e64 s[0:1], 0, v0
	v_cmp_ne_u32_e64 s[2:3], 0, v0
	v_lshlrev_b32_e32 v12, 2, v0
	v_lshrrev_b32_e32 v13, 3, v0
	v_add_u32_e32 v0, -1, v0
	v_add_lshl_u32 v12, v13, v12, 2
	v_lshrrev_b32_e32 v13, 5, v0
	v_add_lshl_u32 v0, v13, v0, 2
	v_mbcnt_lo_u32_b32 v13, -1, 0
	v_mbcnt_hi_u32_b32 v13, -1, v13
	s_movk_i32 s10, 0x64
	v_and_b32_e32 v14, 15, v13
	v_bfe_i32 v15, v13, 4, 1
	v_add_u32_e32 v16, -1, v13
	v_and_b32_e32 v17, 64, v13
	s_branch .LBB27_2
.LBB27_1:                               ;   in Loop: Header=BB27_2 Depth=1
	s_or_b64 exec, exec, s[4:5]
	s_waitcnt lgkmcnt(0)
	v_add_u32_e32 v6, v18, v6
	v_add_u32_e32 v7, v6, v7
	v_add_u32_e32 v8, v7, v8
	v_add_u32_e32 v9, v8, v9
	v_add_u32_e32 v2, v9, v2
	v_add_u32_e32 v3, v2, v3
	v_add_u32_e32 v4, v3, v4
	s_add_i32 s10, s10, -1
	s_cmp_lg_u32 s10, 0
	v_add_u32_e32 v5, v4, v5
	s_cbranch_scc0 .LBB27_6
.LBB27_2:                               ; =>This Inner Loop Header: Depth=1
	s_waitcnt vmcnt(1)
	v_add_u32_e32 v18, v7, v6
	v_add3_u32 v18, v18, v8, v9
	s_waitcnt vmcnt(0)
	v_add3_u32 v18, v18, v2, v3
	v_add3_u32 v18, v18, v4, v5
	ds_write_b32 v1, v18
	s_waitcnt lgkmcnt(0)
	s_barrier
	s_and_saveexec_b64 s[8:9], vcc
	s_cbranch_execz .LBB27_4
; %bb.3:                                ;   in Loop: Header=BB27_2 Depth=1
	ds_read2_b32 v[20:21], v12 offset1:1
	ds_read2_b32 v[22:23], v12 offset0:2 offset1:3
	v_cmp_ne_u32_e64 s[4:5], 0, v14
	s_waitcnt lgkmcnt(1)
	v_add_u32_e32 v19, v21, v20
	s_waitcnt lgkmcnt(0)
	v_add3_u32 v19, v19, v22, v23
	s_nop 1
	v_mov_b32_dpp v24, v19 row_shr:1 row_mask:0xf bank_mask:0xf
	v_cndmask_b32_e64 v24, 0, v24, s[4:5]
	v_add_u32_e32 v19, v24, v19
	v_cmp_lt_u32_e64 s[4:5], 1, v14
	s_nop 0
	v_mov_b32_dpp v24, v19 row_shr:2 row_mask:0xf bank_mask:0xf
	v_cndmask_b32_e64 v24, 0, v24, s[4:5]
	v_add_u32_e32 v19, v19, v24
	v_cmp_lt_u32_e64 s[4:5], 3, v14
	;; [unrolled: 5-line block ×4, first 2 shown]
	s_nop 0
	v_mov_b32_dpp v24, v19 row_bcast:15 row_mask:0xf bank_mask:0xf
	v_and_b32_e32 v24, v15, v24
	v_add_u32_e32 v19, v19, v24
	s_nop 1
	v_mov_b32_dpp v24, v19 row_bcast:31 row_mask:0xf bank_mask:0xf
	v_cndmask_b32_e64 v24, 0, v24, s[4:5]
	v_cmp_lt_i32_e64 s[4:5], v16, v17
	v_add_u32_e32 v19, v19, v24
	s_nop 0
	v_cndmask_b32_e64 v24, v16, v13, s[4:5]
	v_lshlrev_b32_e32 v24, 2, v24
	ds_bpermute_b32 v19, v24, v19
	s_waitcnt lgkmcnt(0)
	v_add_u32_e32 v19, v19, v20
	v_cndmask_b32_e64 v18, v19, v18, s[0:1]
	v_add_u32_e32 v19, v18, v21
	ds_write2_b32 v12, v18, v19 offset1:1
	v_add_u32_e32 v18, v19, v22
	v_add_u32_e32 v19, v18, v23
	ds_write2_b32 v12, v18, v19 offset0:2 offset1:3
.LBB27_4:                               ;   in Loop: Header=BB27_2 Depth=1
	s_or_b64 exec, exec, s[8:9]
	v_mov_b32_e32 v18, 0
	s_waitcnt lgkmcnt(0)
	s_barrier
	s_and_saveexec_b64 s[4:5], s[2:3]
	s_cbranch_execz .LBB27_1
; %bb.5:                                ;   in Loop: Header=BB27_2 Depth=1
	ds_read_b32 v18, v0
	s_branch .LBB27_1
.LBB27_6:
	v_mov_b32_e32 v0, s6
	v_mov_b32_e32 v1, s7
	v_lshl_add_u64 v[0:1], v[10:11], 2, v[0:1]
	global_store_dwordx4 v[0:1], v[6:9], off
	global_store_dwordx4 v[0:1], v[2:5], off offset:16
	s_endpgm
	.section	.rodata,"a",@progbits
	.p2align	6, 0x0
	.amdhsa_kernel _Z6kernelI14inclusive_scanILN6hipcub18BlockScanAlgorithmE1EEiLj256ELj8ELj100EEvPKT0_PS4_S4_
		.amdhsa_group_segment_fixed_size 1056
		.amdhsa_private_segment_fixed_size 0
		.amdhsa_kernarg_size 280
		.amdhsa_user_sgpr_count 2
		.amdhsa_user_sgpr_dispatch_ptr 0
		.amdhsa_user_sgpr_queue_ptr 0
		.amdhsa_user_sgpr_kernarg_segment_ptr 1
		.amdhsa_user_sgpr_dispatch_id 0
		.amdhsa_user_sgpr_kernarg_preload_length 0
		.amdhsa_user_sgpr_kernarg_preload_offset 0
		.amdhsa_user_sgpr_private_segment_size 0
		.amdhsa_uses_dynamic_stack 0
		.amdhsa_enable_private_segment 0
		.amdhsa_system_sgpr_workgroup_id_x 1
		.amdhsa_system_sgpr_workgroup_id_y 0
		.amdhsa_system_sgpr_workgroup_id_z 0
		.amdhsa_system_sgpr_workgroup_info 0
		.amdhsa_system_vgpr_workitem_id 0
		.amdhsa_next_free_vgpr 25
		.amdhsa_next_free_sgpr 11
		.amdhsa_accum_offset 28
		.amdhsa_reserve_vcc 1
		.amdhsa_float_round_mode_32 0
		.amdhsa_float_round_mode_16_64 0
		.amdhsa_float_denorm_mode_32 3
		.amdhsa_float_denorm_mode_16_64 3
		.amdhsa_dx10_clamp 1
		.amdhsa_ieee_mode 1
		.amdhsa_fp16_overflow 0
		.amdhsa_tg_split 0
		.amdhsa_exception_fp_ieee_invalid_op 0
		.amdhsa_exception_fp_denorm_src 0
		.amdhsa_exception_fp_ieee_div_zero 0
		.amdhsa_exception_fp_ieee_overflow 0
		.amdhsa_exception_fp_ieee_underflow 0
		.amdhsa_exception_fp_ieee_inexact 0
		.amdhsa_exception_int_div_zero 0
	.end_amdhsa_kernel
	.section	.text._Z6kernelI14inclusive_scanILN6hipcub18BlockScanAlgorithmE1EEiLj256ELj8ELj100EEvPKT0_PS4_S4_,"axG",@progbits,_Z6kernelI14inclusive_scanILN6hipcub18BlockScanAlgorithmE1EEiLj256ELj8ELj100EEvPKT0_PS4_S4_,comdat
.Lfunc_end27:
	.size	_Z6kernelI14inclusive_scanILN6hipcub18BlockScanAlgorithmE1EEiLj256ELj8ELj100EEvPKT0_PS4_S4_, .Lfunc_end27-_Z6kernelI14inclusive_scanILN6hipcub18BlockScanAlgorithmE1EEiLj256ELj8ELj100EEvPKT0_PS4_S4_
                                        ; -- End function
	.section	.AMDGPU.csdata,"",@progbits
; Kernel info:
; codeLenInByte = 660
; NumSgprs: 17
; NumVgprs: 25
; NumAgprs: 0
; TotalNumVgprs: 25
; ScratchSize: 0
; MemoryBound: 0
; FloatMode: 240
; IeeeMode: 1
; LDSByteSize: 1056 bytes/workgroup (compile time only)
; SGPRBlocks: 2
; VGPRBlocks: 3
; NumSGPRsForWavesPerEU: 17
; NumVGPRsForWavesPerEU: 25
; AccumOffset: 28
; Occupancy: 8
; WaveLimiterHint : 0
; COMPUTE_PGM_RSRC2:SCRATCH_EN: 0
; COMPUTE_PGM_RSRC2:USER_SGPR: 2
; COMPUTE_PGM_RSRC2:TRAP_HANDLER: 0
; COMPUTE_PGM_RSRC2:TGID_X_EN: 1
; COMPUTE_PGM_RSRC2:TGID_Y_EN: 0
; COMPUTE_PGM_RSRC2:TGID_Z_EN: 0
; COMPUTE_PGM_RSRC2:TIDIG_COMP_CNT: 0
; COMPUTE_PGM_RSRC3_GFX90A:ACCUM_OFFSET: 6
; COMPUTE_PGM_RSRC3_GFX90A:TG_SPLIT: 0
	.section	.text._Z6kernelI14inclusive_scanILN6hipcub18BlockScanAlgorithmE1EEiLj256ELj11ELj100EEvPKT0_PS4_S4_,"axG",@progbits,_Z6kernelI14inclusive_scanILN6hipcub18BlockScanAlgorithmE1EEiLj256ELj11ELj100EEvPKT0_PS4_S4_,comdat
	.protected	_Z6kernelI14inclusive_scanILN6hipcub18BlockScanAlgorithmE1EEiLj256ELj11ELj100EEvPKT0_PS4_S4_ ; -- Begin function _Z6kernelI14inclusive_scanILN6hipcub18BlockScanAlgorithmE1EEiLj256ELj11ELj100EEvPKT0_PS4_S4_
	.globl	_Z6kernelI14inclusive_scanILN6hipcub18BlockScanAlgorithmE1EEiLj256ELj11ELj100EEvPKT0_PS4_S4_
	.p2align	8
	.type	_Z6kernelI14inclusive_scanILN6hipcub18BlockScanAlgorithmE1EEiLj256ELj11ELj100EEvPKT0_PS4_S4_,@function
_Z6kernelI14inclusive_scanILN6hipcub18BlockScanAlgorithmE1EEiLj256ELj11ELj100EEvPKT0_PS4_S4_: ; @_Z6kernelI14inclusive_scanILN6hipcub18BlockScanAlgorithmE1EEiLj256ELj11ELj100EEvPKT0_PS4_S4_
; %bb.0:
	s_load_dword s3, s[0:1], 0x24
	s_load_dwordx4 s[4:7], s[0:1], 0x0
	v_mov_b32_e32 v3, 0
	v_mov_b32_e32 v5, v3
	;; [unrolled: 1-line block ×3, first 2 shown]
	s_waitcnt lgkmcnt(0)
	s_and_b32 s0, s3, 0xffff
	s_mul_i32 s2, s2, s0
	v_add_u32_e32 v1, s2, v0
	v_mul_lo_u32 v2, v1, 11
	v_lshl_add_u64 v[18:19], v[2:3], 2, s[4:5]
	v_add_u32_e32 v4, 1, v2
	v_add_u32_e32 v6, 2, v2
	;; [unrolled: 1-line block ×3, first 2 shown]
	v_mov_b32_e32 v9, v3
	v_add_u32_e32 v10, 4, v2
	v_mov_b32_e32 v11, v3
	v_add_u32_e32 v12, 5, v2
	;; [unrolled: 2-line block ×4, first 2 shown]
	v_mov_b32_e32 v17, v3
	v_lshl_add_u64 v[20:21], v[4:5], 2, s[4:5]
	v_lshl_add_u64 v[22:23], v[6:7], 2, s[4:5]
	;; [unrolled: 1-line block ×7, first 2 shown]
	global_load_dword v30, v[18:19], off
	global_load_dword v29, v[20:21], off
	;; [unrolled: 1-line block ×8, first 2 shown]
	v_add_u32_e32 v18, 8, v2
	v_mov_b32_e32 v19, v3
	v_lshl_add_u64 v[34:35], v[18:19], 2, s[4:5]
	v_add_u32_e32 v20, 9, v2
	v_mov_b32_e32 v21, v3
	v_add_u32_e32 v22, 10, v2
	v_mov_b32_e32 v23, v3
	v_lshl_add_u64 v[36:37], v[20:21], 2, s[4:5]
	v_lshl_add_u64 v[38:39], v[22:23], 2, s[4:5]
	global_load_dword v33, v[34:35], off
	global_load_dword v32, v[36:37], off
	;; [unrolled: 1-line block ×3, first 2 shown]
	v_lshrrev_b32_e32 v34, 5, v0
	v_add_lshl_u32 v34, v34, v0, 2
	v_cmp_gt_u32_e32 vcc, 64, v0
	v_cmp_eq_u32_e64 s[0:1], 0, v0
	v_cmp_ne_u32_e64 s[2:3], 0, v0
	v_lshlrev_b32_e32 v35, 2, v0
	v_lshrrev_b32_e32 v36, 3, v0
	v_add_u32_e32 v0, -1, v0
	v_add_lshl_u32 v35, v36, v35, 2
	v_lshrrev_b32_e32 v36, 5, v0
	v_add_lshl_u32 v0, v36, v0, 2
	v_mbcnt_lo_u32_b32 v36, -1, 0
	v_mbcnt_hi_u32_b32 v36, -1, v36
	s_movk_i32 s10, 0x64
	v_and_b32_e32 v37, 15, v36
	v_bfe_i32 v38, v36, 4, 1
	v_add_u32_e32 v39, -1, v36
	v_and_b32_e32 v40, 64, v36
	s_branch .LBB28_2
.LBB28_1:                               ;   in Loop: Header=BB28_2 Depth=1
	s_or_b64 exec, exec, s[4:5]
	s_waitcnt lgkmcnt(0)
	v_add_u32_e32 v30, v41, v30
	v_add_u32_e32 v29, v30, v29
	;; [unrolled: 1-line block ×10, first 2 shown]
	s_add_i32 s10, s10, -1
	s_cmp_lg_u32 s10, 0
	v_add_u32_e32 v31, v32, v31
	s_cbranch_scc0 .LBB28_6
.LBB28_2:                               ; =>This Inner Loop Header: Depth=1
	s_waitcnt vmcnt(0)
	v_add3_u32 v41, v32, v31, v33
	v_add3_u32 v41, v41, v1, v24
	v_add3_u32 v41, v41, v25, v26
	v_add3_u32 v41, v41, v27, v28
	v_add3_u32 v41, v41, v29, v30
	ds_write_b32 v34, v41
	s_waitcnt lgkmcnt(0)
	s_barrier
	s_and_saveexec_b64 s[8:9], vcc
	s_cbranch_execz .LBB28_4
; %bb.3:                                ;   in Loop: Header=BB28_2 Depth=1
	ds_read2_b32 v[42:43], v35 offset1:1
	ds_read2_b32 v[44:45], v35 offset0:2 offset1:3
	v_cmp_ne_u32_e64 s[4:5], 0, v37
	s_waitcnt lgkmcnt(1)
	v_add_u32_e32 v46, v43, v42
	s_waitcnt lgkmcnt(0)
	v_add3_u32 v46, v46, v44, v45
	s_nop 1
	v_mov_b32_dpp v47, v46 row_shr:1 row_mask:0xf bank_mask:0xf
	v_cndmask_b32_e64 v47, 0, v47, s[4:5]
	v_add_u32_e32 v46, v47, v46
	v_cmp_lt_u32_e64 s[4:5], 1, v37
	s_nop 0
	v_mov_b32_dpp v47, v46 row_shr:2 row_mask:0xf bank_mask:0xf
	v_cndmask_b32_e64 v47, 0, v47, s[4:5]
	v_add_u32_e32 v46, v46, v47
	v_cmp_lt_u32_e64 s[4:5], 3, v37
	;; [unrolled: 5-line block ×4, first 2 shown]
	s_nop 0
	v_mov_b32_dpp v47, v46 row_bcast:15 row_mask:0xf bank_mask:0xf
	v_and_b32_e32 v47, v38, v47
	v_add_u32_e32 v46, v46, v47
	s_nop 1
	v_mov_b32_dpp v47, v46 row_bcast:31 row_mask:0xf bank_mask:0xf
	v_cndmask_b32_e64 v47, 0, v47, s[4:5]
	v_cmp_lt_i32_e64 s[4:5], v39, v40
	v_add_u32_e32 v46, v46, v47
	s_nop 0
	v_cndmask_b32_e64 v47, v39, v36, s[4:5]
	v_lshlrev_b32_e32 v47, 2, v47
	ds_bpermute_b32 v46, v47, v46
	s_waitcnt lgkmcnt(0)
	v_add_u32_e32 v42, v46, v42
	v_cndmask_b32_e64 v41, v42, v41, s[0:1]
	v_add_u32_e32 v42, v41, v43
	ds_write2_b32 v35, v41, v42 offset1:1
	v_add_u32_e32 v41, v42, v44
	v_add_u32_e32 v42, v41, v45
	ds_write2_b32 v35, v41, v42 offset0:2 offset1:3
.LBB28_4:                               ;   in Loop: Header=BB28_2 Depth=1
	s_or_b64 exec, exec, s[8:9]
	v_mov_b32_e32 v41, 0
	s_waitcnt lgkmcnt(0)
	s_barrier
	s_and_saveexec_b64 s[4:5], s[2:3]
	s_cbranch_execz .LBB28_1
; %bb.5:                                ;   in Loop: Header=BB28_2 Depth=1
	ds_read_b32 v41, v0
	s_branch .LBB28_1
.LBB28_6:
	v_lshl_add_u64 v[2:3], v[2:3], 2, s[6:7]
	global_store_dword v[2:3], v30, off
	v_lshl_add_u64 v[2:3], v[4:5], 2, s[6:7]
	global_store_dword v[2:3], v29, off
	;; [unrolled: 2-line block ×11, first 2 shown]
	s_endpgm
	.section	.rodata,"a",@progbits
	.p2align	6, 0x0
	.amdhsa_kernel _Z6kernelI14inclusive_scanILN6hipcub18BlockScanAlgorithmE1EEiLj256ELj11ELj100EEvPKT0_PS4_S4_
		.amdhsa_group_segment_fixed_size 1056
		.amdhsa_private_segment_fixed_size 0
		.amdhsa_kernarg_size 280
		.amdhsa_user_sgpr_count 2
		.amdhsa_user_sgpr_dispatch_ptr 0
		.amdhsa_user_sgpr_queue_ptr 0
		.amdhsa_user_sgpr_kernarg_segment_ptr 1
		.amdhsa_user_sgpr_dispatch_id 0
		.amdhsa_user_sgpr_kernarg_preload_length 0
		.amdhsa_user_sgpr_kernarg_preload_offset 0
		.amdhsa_user_sgpr_private_segment_size 0
		.amdhsa_uses_dynamic_stack 0
		.amdhsa_enable_private_segment 0
		.amdhsa_system_sgpr_workgroup_id_x 1
		.amdhsa_system_sgpr_workgroup_id_y 0
		.amdhsa_system_sgpr_workgroup_id_z 0
		.amdhsa_system_sgpr_workgroup_info 0
		.amdhsa_system_vgpr_workitem_id 0
		.amdhsa_next_free_vgpr 48
		.amdhsa_next_free_sgpr 11
		.amdhsa_accum_offset 48
		.amdhsa_reserve_vcc 1
		.amdhsa_float_round_mode_32 0
		.amdhsa_float_round_mode_16_64 0
		.amdhsa_float_denorm_mode_32 3
		.amdhsa_float_denorm_mode_16_64 3
		.amdhsa_dx10_clamp 1
		.amdhsa_ieee_mode 1
		.amdhsa_fp16_overflow 0
		.amdhsa_tg_split 0
		.amdhsa_exception_fp_ieee_invalid_op 0
		.amdhsa_exception_fp_denorm_src 0
		.amdhsa_exception_fp_ieee_div_zero 0
		.amdhsa_exception_fp_ieee_overflow 0
		.amdhsa_exception_fp_ieee_underflow 0
		.amdhsa_exception_fp_ieee_inexact 0
		.amdhsa_exception_int_div_zero 0
	.end_amdhsa_kernel
	.section	.text._Z6kernelI14inclusive_scanILN6hipcub18BlockScanAlgorithmE1EEiLj256ELj11ELj100EEvPKT0_PS4_S4_,"axG",@progbits,_Z6kernelI14inclusive_scanILN6hipcub18BlockScanAlgorithmE1EEiLj256ELj11ELj100EEvPKT0_PS4_S4_,comdat
.Lfunc_end28:
	.size	_Z6kernelI14inclusive_scanILN6hipcub18BlockScanAlgorithmE1EEiLj256ELj11ELj100EEvPKT0_PS4_S4_, .Lfunc_end28-_Z6kernelI14inclusive_scanILN6hipcub18BlockScanAlgorithmE1EEiLj256ELj11ELj100EEvPKT0_PS4_S4_
                                        ; -- End function
	.section	.AMDGPU.csdata,"",@progbits
; Kernel info:
; codeLenInByte = 1052
; NumSgprs: 17
; NumVgprs: 48
; NumAgprs: 0
; TotalNumVgprs: 48
; ScratchSize: 0
; MemoryBound: 0
; FloatMode: 240
; IeeeMode: 1
; LDSByteSize: 1056 bytes/workgroup (compile time only)
; SGPRBlocks: 2
; VGPRBlocks: 5
; NumSGPRsForWavesPerEU: 17
; NumVGPRsForWavesPerEU: 48
; AccumOffset: 48
; Occupancy: 8
; WaveLimiterHint : 0
; COMPUTE_PGM_RSRC2:SCRATCH_EN: 0
; COMPUTE_PGM_RSRC2:USER_SGPR: 2
; COMPUTE_PGM_RSRC2:TRAP_HANDLER: 0
; COMPUTE_PGM_RSRC2:TGID_X_EN: 1
; COMPUTE_PGM_RSRC2:TGID_Y_EN: 0
; COMPUTE_PGM_RSRC2:TGID_Z_EN: 0
; COMPUTE_PGM_RSRC2:TIDIG_COMP_CNT: 0
; COMPUTE_PGM_RSRC3_GFX90A:ACCUM_OFFSET: 11
; COMPUTE_PGM_RSRC3_GFX90A:TG_SPLIT: 0
	.section	.text._Z6kernelI14inclusive_scanILN6hipcub18BlockScanAlgorithmE1EEiLj256ELj16ELj100EEvPKT0_PS4_S4_,"axG",@progbits,_Z6kernelI14inclusive_scanILN6hipcub18BlockScanAlgorithmE1EEiLj256ELj16ELj100EEvPKT0_PS4_S4_,comdat
	.protected	_Z6kernelI14inclusive_scanILN6hipcub18BlockScanAlgorithmE1EEiLj256ELj16ELj100EEvPKT0_PS4_S4_ ; -- Begin function _Z6kernelI14inclusive_scanILN6hipcub18BlockScanAlgorithmE1EEiLj256ELj16ELj100EEvPKT0_PS4_S4_
	.globl	_Z6kernelI14inclusive_scanILN6hipcub18BlockScanAlgorithmE1EEiLj256ELj16ELj100EEvPKT0_PS4_S4_
	.p2align	8
	.type	_Z6kernelI14inclusive_scanILN6hipcub18BlockScanAlgorithmE1EEiLj256ELj16ELj100EEvPKT0_PS4_S4_,@function
_Z6kernelI14inclusive_scanILN6hipcub18BlockScanAlgorithmE1EEiLj256ELj16ELj100EEvPKT0_PS4_S4_: ; @_Z6kernelI14inclusive_scanILN6hipcub18BlockScanAlgorithmE1EEiLj256ELj16ELj100EEvPKT0_PS4_S4_
; %bb.0:
	s_load_dwordx4 s[4:7], s[0:1], 0x0
	s_load_dword s3, s[0:1], 0x24
	v_mov_b32_e32 v19, 0
	v_lshrrev_b32_e32 v1, 5, v0
	v_add_lshl_u32 v1, v1, v0, 2
	s_waitcnt lgkmcnt(0)
	v_mov_b32_e32 v2, s4
	s_and_b32 s0, s3, 0xffff
	s_mul_i32 s2, s2, s0
	v_mov_b32_e32 v3, s5
	v_add_lshl_u32 v18, s2, v0, 4
	v_lshl_add_u64 v[20:21], v[18:19], 2, v[2:3]
	global_load_dwordx4 v[2:5], v[20:21], off offset:48
	global_load_dwordx4 v[6:9], v[20:21], off offset:32
	;; [unrolled: 1-line block ×3, first 2 shown]
	global_load_dwordx4 v[14:17], v[20:21], off
	v_cmp_gt_u32_e32 vcc, 64, v0
	v_cmp_eq_u32_e64 s[0:1], 0, v0
	v_cmp_ne_u32_e64 s[2:3], 0, v0
	v_lshlrev_b32_e32 v20, 2, v0
	v_lshrrev_b32_e32 v21, 3, v0
	v_add_u32_e32 v0, -1, v0
	v_add_lshl_u32 v20, v21, v20, 2
	v_lshrrev_b32_e32 v21, 5, v0
	v_add_lshl_u32 v0, v21, v0, 2
	v_mbcnt_lo_u32_b32 v21, -1, 0
	v_mbcnt_hi_u32_b32 v21, -1, v21
	s_movk_i32 s10, 0x64
	v_and_b32_e32 v22, 15, v21
	v_bfe_i32 v23, v21, 4, 1
	v_add_u32_e32 v24, -1, v21
	s_branch .LBB29_2
.LBB29_1:                               ;   in Loop: Header=BB29_2 Depth=1
	s_or_b64 exec, exec, s[4:5]
	s_waitcnt lgkmcnt(0)
	v_add_u32_e32 v14, v25, v14
	v_add_u32_e32 v15, v14, v15
	;; [unrolled: 1-line block ×15, first 2 shown]
	s_add_i32 s10, s10, -1
	s_cmp_lg_u32 s10, 0
	v_add_u32_e32 v5, v4, v5
	s_cbranch_scc0 .LBB29_6
.LBB29_2:                               ; =>This Inner Loop Header: Depth=1
	s_waitcnt vmcnt(3)
	v_add_u32_e32 v25, v4, v5
	v_add3_u32 v25, v25, v3, v2
	s_waitcnt vmcnt(2)
	v_add3_u32 v25, v25, v9, v8
	v_add3_u32 v25, v25, v7, v6
	s_waitcnt vmcnt(1)
	v_add3_u32 v25, v25, v13, v12
	;; [unrolled: 3-line block ×3, first 2 shown]
	v_add3_u32 v25, v25, v15, v14
	ds_write_b32 v1, v25
	s_waitcnt lgkmcnt(0)
	s_barrier
	s_and_saveexec_b64 s[8:9], vcc
	s_cbranch_execz .LBB29_4
; %bb.3:                                ;   in Loop: Header=BB29_2 Depth=1
	ds_read2_b32 v[26:27], v20 offset1:1
	ds_read2_b32 v[28:29], v20 offset0:2 offset1:3
	v_cmp_ne_u32_e64 s[4:5], 0, v22
	s_waitcnt lgkmcnt(1)
	v_add_u32_e32 v30, v27, v26
	s_waitcnt lgkmcnt(0)
	v_add3_u32 v30, v30, v28, v29
	s_nop 1
	v_mov_b32_dpp v31, v30 row_shr:1 row_mask:0xf bank_mask:0xf
	v_cndmask_b32_e64 v31, 0, v31, s[4:5]
	v_add_u32_e32 v30, v31, v30
	v_cmp_lt_u32_e64 s[4:5], 1, v22
	s_nop 0
	v_mov_b32_dpp v31, v30 row_shr:2 row_mask:0xf bank_mask:0xf
	v_cndmask_b32_e64 v31, 0, v31, s[4:5]
	v_add_u32_e32 v30, v30, v31
	v_cmp_lt_u32_e64 s[4:5], 3, v22
	;; [unrolled: 5-line block ×4, first 2 shown]
	s_nop 0
	v_mov_b32_dpp v31, v30 row_bcast:15 row_mask:0xf bank_mask:0xf
	v_and_b32_e32 v31, v23, v31
	v_add_u32_e32 v30, v30, v31
	s_nop 1
	v_mov_b32_dpp v31, v30 row_bcast:31 row_mask:0xf bank_mask:0xf
	v_cndmask_b32_e64 v31, 0, v31, s[4:5]
	v_add_u32_e32 v30, v30, v31
	v_and_b32_e32 v31, 64, v21
	v_cmp_lt_i32_e64 s[4:5], v24, v31
	s_nop 1
	v_cndmask_b32_e64 v31, v24, v21, s[4:5]
	v_lshlrev_b32_e32 v31, 2, v31
	ds_bpermute_b32 v30, v31, v30
	s_waitcnt lgkmcnt(0)
	v_add_u32_e32 v26, v30, v26
	v_cndmask_b32_e64 v25, v26, v25, s[0:1]
	v_add_u32_e32 v26, v25, v27
	ds_write2_b32 v20, v25, v26 offset1:1
	v_add_u32_e32 v25, v26, v28
	v_add_u32_e32 v26, v25, v29
	ds_write2_b32 v20, v25, v26 offset0:2 offset1:3
.LBB29_4:                               ;   in Loop: Header=BB29_2 Depth=1
	s_or_b64 exec, exec, s[8:9]
	v_mov_b32_e32 v25, 0
	s_waitcnt lgkmcnt(0)
	s_barrier
	s_and_saveexec_b64 s[4:5], s[2:3]
	s_cbranch_execz .LBB29_1
; %bb.5:                                ;   in Loop: Header=BB29_2 Depth=1
	ds_read_b32 v25, v0
	s_branch .LBB29_1
.LBB29_6:
	v_mov_b32_e32 v0, s6
	v_mov_b32_e32 v1, s7
	v_lshl_add_u64 v[0:1], v[18:19], 2, v[0:1]
	global_store_dwordx4 v[0:1], v[14:17], off
	global_store_dwordx4 v[0:1], v[10:13], off offset:16
	global_store_dwordx4 v[0:1], v[6:9], off offset:32
	;; [unrolled: 1-line block ×3, first 2 shown]
	s_endpgm
	.section	.rodata,"a",@progbits
	.p2align	6, 0x0
	.amdhsa_kernel _Z6kernelI14inclusive_scanILN6hipcub18BlockScanAlgorithmE1EEiLj256ELj16ELj100EEvPKT0_PS4_S4_
		.amdhsa_group_segment_fixed_size 1056
		.amdhsa_private_segment_fixed_size 0
		.amdhsa_kernarg_size 280
		.amdhsa_user_sgpr_count 2
		.amdhsa_user_sgpr_dispatch_ptr 0
		.amdhsa_user_sgpr_queue_ptr 0
		.amdhsa_user_sgpr_kernarg_segment_ptr 1
		.amdhsa_user_sgpr_dispatch_id 0
		.amdhsa_user_sgpr_kernarg_preload_length 0
		.amdhsa_user_sgpr_kernarg_preload_offset 0
		.amdhsa_user_sgpr_private_segment_size 0
		.amdhsa_uses_dynamic_stack 0
		.amdhsa_enable_private_segment 0
		.amdhsa_system_sgpr_workgroup_id_x 1
		.amdhsa_system_sgpr_workgroup_id_y 0
		.amdhsa_system_sgpr_workgroup_id_z 0
		.amdhsa_system_sgpr_workgroup_info 0
		.amdhsa_system_vgpr_workitem_id 0
		.amdhsa_next_free_vgpr 32
		.amdhsa_next_free_sgpr 11
		.amdhsa_accum_offset 32
		.amdhsa_reserve_vcc 1
		.amdhsa_float_round_mode_32 0
		.amdhsa_float_round_mode_16_64 0
		.amdhsa_float_denorm_mode_32 3
		.amdhsa_float_denorm_mode_16_64 3
		.amdhsa_dx10_clamp 1
		.amdhsa_ieee_mode 1
		.amdhsa_fp16_overflow 0
		.amdhsa_tg_split 0
		.amdhsa_exception_fp_ieee_invalid_op 0
		.amdhsa_exception_fp_denorm_src 0
		.amdhsa_exception_fp_ieee_div_zero 0
		.amdhsa_exception_fp_ieee_overflow 0
		.amdhsa_exception_fp_ieee_underflow 0
		.amdhsa_exception_fp_ieee_inexact 0
		.amdhsa_exception_int_div_zero 0
	.end_amdhsa_kernel
	.section	.text._Z6kernelI14inclusive_scanILN6hipcub18BlockScanAlgorithmE1EEiLj256ELj16ELj100EEvPKT0_PS4_S4_,"axG",@progbits,_Z6kernelI14inclusive_scanILN6hipcub18BlockScanAlgorithmE1EEiLj256ELj16ELj100EEvPKT0_PS4_S4_,comdat
.Lfunc_end29:
	.size	_Z6kernelI14inclusive_scanILN6hipcub18BlockScanAlgorithmE1EEiLj256ELj16ELj100EEvPKT0_PS4_S4_, .Lfunc_end29-_Z6kernelI14inclusive_scanILN6hipcub18BlockScanAlgorithmE1EEiLj256ELj16ELj100EEvPKT0_PS4_S4_
                                        ; -- End function
	.section	.AMDGPU.csdata,"",@progbits
; Kernel info:
; codeLenInByte = 764
; NumSgprs: 17
; NumVgprs: 32
; NumAgprs: 0
; TotalNumVgprs: 32
; ScratchSize: 0
; MemoryBound: 0
; FloatMode: 240
; IeeeMode: 1
; LDSByteSize: 1056 bytes/workgroup (compile time only)
; SGPRBlocks: 2
; VGPRBlocks: 3
; NumSGPRsForWavesPerEU: 17
; NumVGPRsForWavesPerEU: 32
; AccumOffset: 32
; Occupancy: 8
; WaveLimiterHint : 0
; COMPUTE_PGM_RSRC2:SCRATCH_EN: 0
; COMPUTE_PGM_RSRC2:USER_SGPR: 2
; COMPUTE_PGM_RSRC2:TRAP_HANDLER: 0
; COMPUTE_PGM_RSRC2:TGID_X_EN: 1
; COMPUTE_PGM_RSRC2:TGID_Y_EN: 0
; COMPUTE_PGM_RSRC2:TGID_Z_EN: 0
; COMPUTE_PGM_RSRC2:TIDIG_COMP_CNT: 0
; COMPUTE_PGM_RSRC3_GFX90A:ACCUM_OFFSET: 7
; COMPUTE_PGM_RSRC3_GFX90A:TG_SPLIT: 0
	.section	.text._Z6kernelI14inclusive_scanILN6hipcub18BlockScanAlgorithmE1EEfLj256ELj1ELj100EEvPKT0_PS4_S4_,"axG",@progbits,_Z6kernelI14inclusive_scanILN6hipcub18BlockScanAlgorithmE1EEfLj256ELj1ELj100EEvPKT0_PS4_S4_,comdat
	.protected	_Z6kernelI14inclusive_scanILN6hipcub18BlockScanAlgorithmE1EEfLj256ELj1ELj100EEvPKT0_PS4_S4_ ; -- Begin function _Z6kernelI14inclusive_scanILN6hipcub18BlockScanAlgorithmE1EEfLj256ELj1ELj100EEvPKT0_PS4_S4_
	.globl	_Z6kernelI14inclusive_scanILN6hipcub18BlockScanAlgorithmE1EEfLj256ELj1ELj100EEvPKT0_PS4_S4_
	.p2align	8
	.type	_Z6kernelI14inclusive_scanILN6hipcub18BlockScanAlgorithmE1EEfLj256ELj1ELj100EEvPKT0_PS4_S4_,@function
_Z6kernelI14inclusive_scanILN6hipcub18BlockScanAlgorithmE1EEfLj256ELj1ELj100EEvPKT0_PS4_S4_: ; @_Z6kernelI14inclusive_scanILN6hipcub18BlockScanAlgorithmE1EEfLj256ELj1ELj100EEvPKT0_PS4_S4_
; %bb.0:
	s_load_dwordx4 s[4:7], s[0:1], 0x0
	s_load_dword s3, s[0:1], 0x24
	v_mov_b32_e32 v3, 0
	v_lshrrev_b32_e32 v1, 5, v0
	v_add_lshl_u32 v1, v1, v0, 2
	s_waitcnt lgkmcnt(0)
	v_mov_b32_e32 v4, s4
	s_and_b32 s0, s3, 0xffff
	s_mul_i32 s2, s2, s0
	v_mov_b32_e32 v5, s5
	v_add_u32_e32 v2, s2, v0
	v_lshl_add_u64 v[4:5], v[2:3], 2, v[4:5]
	global_load_dword v4, v[4:5], off
	v_cmp_gt_u32_e32 vcc, 64, v0
	v_lshlrev_b32_e32 v5, 2, v0
	v_lshrrev_b32_e32 v6, 3, v0
	v_cmp_eq_u32_e64 s[0:1], 0, v0
	v_mbcnt_lo_u32_b32 v0, -1, 0
	v_mbcnt_hi_u32_b32 v0, -1, v0
	v_add_lshl_u32 v5, v6, v5, 2
	s_movk_i32 s8, 0x64
	v_and_b32_e32 v6, 15, v0
	v_and_b32_e32 v7, 16, v0
	v_add_u32_e32 v8, -1, v0
	v_and_b32_e32 v9, 64, v0
	s_branch .LBB30_2
.LBB30_1:                               ;   in Loop: Header=BB30_2 Depth=1
	s_or_b64 exec, exec, s[4:5]
	s_waitcnt lgkmcnt(0)
	s_barrier
	ds_read_b32 v4, v1
	s_add_i32 s8, s8, -1
	s_cmp_lg_u32 s8, 0
	s_cbranch_scc0 .LBB30_4
.LBB30_2:                               ; =>This Inner Loop Header: Depth=1
	s_waitcnt vmcnt(0) lgkmcnt(0)
	ds_write_b32 v1, v4
	s_waitcnt lgkmcnt(0)
	s_barrier
	s_and_saveexec_b64 s[4:5], vcc
	s_cbranch_execz .LBB30_1
; %bb.3:                                ;   in Loop: Header=BB30_2 Depth=1
	ds_read2_b32 v[10:11], v5 offset1:1
	ds_read2_b32 v[12:13], v5 offset0:2 offset1:3
	v_cmp_eq_u32_e64 s[2:3], 0, v6
	s_waitcnt lgkmcnt(1)
	v_add_f32_e32 v14, v10, v11
	s_waitcnt lgkmcnt(0)
	v_add_f32_e32 v14, v14, v12
	v_add_f32_e32 v14, v14, v13
	s_nop 1
	v_mov_b32_dpp v15, v14 row_shr:1 row_mask:0xf bank_mask:0xf
	v_add_f32_e32 v15, v14, v15
	v_cndmask_b32_e64 v14, v15, v14, s[2:3]
	v_cmp_lt_u32_e64 s[2:3], 1, v6
	s_nop 0
	v_mov_b32_dpp v15, v14 row_shr:2 row_mask:0xf bank_mask:0xf
	v_add_f32_e32 v15, v14, v15
	v_cndmask_b32_e64 v14, v14, v15, s[2:3]
	v_cmp_lt_u32_e64 s[2:3], 3, v6
	;; [unrolled: 5-line block ×3, first 2 shown]
	s_nop 0
	v_mov_b32_dpp v15, v14 row_shr:8 row_mask:0xf bank_mask:0xf
	v_add_f32_e32 v15, v14, v15
	v_cndmask_b32_e64 v14, v14, v15, s[2:3]
	v_cmp_eq_u32_e64 s[2:3], 0, v7
	s_nop 0
	v_mov_b32_dpp v15, v14 row_bcast:15 row_mask:0xf bank_mask:0xf
	v_add_f32_e32 v15, v14, v15
	v_cndmask_b32_e64 v14, v15, v14, s[2:3]
	v_cmp_lt_u32_e64 s[2:3], 31, v0
	s_nop 0
	v_mov_b32_dpp v15, v14 row_bcast:31 row_mask:0xf bank_mask:0xf
	v_add_f32_e32 v15, v14, v15
	v_cndmask_b32_e64 v14, v14, v15, s[2:3]
	v_cmp_lt_i32_e64 s[2:3], v8, v9
	s_nop 1
	v_cndmask_b32_e64 v15, v8, v0, s[2:3]
	v_lshlrev_b32_e32 v15, 2, v15
	ds_bpermute_b32 v14, v15, v14
	s_waitcnt lgkmcnt(0)
	v_add_f32_e32 v10, v10, v14
	v_cndmask_b32_e64 v4, v10, v4, s[0:1]
	v_add_f32_e32 v10, v11, v4
	ds_write2_b32 v5, v4, v10 offset1:1
	v_add_f32_e32 v4, v12, v10
	v_add_f32_e32 v10, v13, v4
	ds_write2_b32 v5, v4, v10 offset0:2 offset1:3
	s_branch .LBB30_1
.LBB30_4:
	v_mov_b32_e32 v0, s6
	v_mov_b32_e32 v1, s7
	v_lshl_add_u64 v[0:1], v[2:3], 2, v[0:1]
	s_waitcnt lgkmcnt(0)
	global_store_dword v[0:1], v4, off
	s_endpgm
	.section	.rodata,"a",@progbits
	.p2align	6, 0x0
	.amdhsa_kernel _Z6kernelI14inclusive_scanILN6hipcub18BlockScanAlgorithmE1EEfLj256ELj1ELj100EEvPKT0_PS4_S4_
		.amdhsa_group_segment_fixed_size 1056
		.amdhsa_private_segment_fixed_size 0
		.amdhsa_kernarg_size 280
		.amdhsa_user_sgpr_count 2
		.amdhsa_user_sgpr_dispatch_ptr 0
		.amdhsa_user_sgpr_queue_ptr 0
		.amdhsa_user_sgpr_kernarg_segment_ptr 1
		.amdhsa_user_sgpr_dispatch_id 0
		.amdhsa_user_sgpr_kernarg_preload_length 0
		.amdhsa_user_sgpr_kernarg_preload_offset 0
		.amdhsa_user_sgpr_private_segment_size 0
		.amdhsa_uses_dynamic_stack 0
		.amdhsa_enable_private_segment 0
		.amdhsa_system_sgpr_workgroup_id_x 1
		.amdhsa_system_sgpr_workgroup_id_y 0
		.amdhsa_system_sgpr_workgroup_id_z 0
		.amdhsa_system_sgpr_workgroup_info 0
		.amdhsa_system_vgpr_workitem_id 0
		.amdhsa_next_free_vgpr 16
		.amdhsa_next_free_sgpr 9
		.amdhsa_accum_offset 16
		.amdhsa_reserve_vcc 1
		.amdhsa_float_round_mode_32 0
		.amdhsa_float_round_mode_16_64 0
		.amdhsa_float_denorm_mode_32 3
		.amdhsa_float_denorm_mode_16_64 3
		.amdhsa_dx10_clamp 1
		.amdhsa_ieee_mode 1
		.amdhsa_fp16_overflow 0
		.amdhsa_tg_split 0
		.amdhsa_exception_fp_ieee_invalid_op 0
		.amdhsa_exception_fp_denorm_src 0
		.amdhsa_exception_fp_ieee_div_zero 0
		.amdhsa_exception_fp_ieee_overflow 0
		.amdhsa_exception_fp_ieee_underflow 0
		.amdhsa_exception_fp_ieee_inexact 0
		.amdhsa_exception_int_div_zero 0
	.end_amdhsa_kernel
	.section	.text._Z6kernelI14inclusive_scanILN6hipcub18BlockScanAlgorithmE1EEfLj256ELj1ELj100EEvPKT0_PS4_S4_,"axG",@progbits,_Z6kernelI14inclusive_scanILN6hipcub18BlockScanAlgorithmE1EEfLj256ELj1ELj100EEvPKT0_PS4_S4_,comdat
.Lfunc_end30:
	.size	_Z6kernelI14inclusive_scanILN6hipcub18BlockScanAlgorithmE1EEfLj256ELj1ELj100EEvPKT0_PS4_S4_, .Lfunc_end30-_Z6kernelI14inclusive_scanILN6hipcub18BlockScanAlgorithmE1EEfLj256ELj1ELj100EEvPKT0_PS4_S4_
                                        ; -- End function
	.section	.AMDGPU.csdata,"",@progbits
; Kernel info:
; codeLenInByte = 544
; NumSgprs: 15
; NumVgprs: 16
; NumAgprs: 0
; TotalNumVgprs: 16
; ScratchSize: 0
; MemoryBound: 0
; FloatMode: 240
; IeeeMode: 1
; LDSByteSize: 1056 bytes/workgroup (compile time only)
; SGPRBlocks: 1
; VGPRBlocks: 1
; NumSGPRsForWavesPerEU: 15
; NumVGPRsForWavesPerEU: 16
; AccumOffset: 16
; Occupancy: 8
; WaveLimiterHint : 0
; COMPUTE_PGM_RSRC2:SCRATCH_EN: 0
; COMPUTE_PGM_RSRC2:USER_SGPR: 2
; COMPUTE_PGM_RSRC2:TRAP_HANDLER: 0
; COMPUTE_PGM_RSRC2:TGID_X_EN: 1
; COMPUTE_PGM_RSRC2:TGID_Y_EN: 0
; COMPUTE_PGM_RSRC2:TGID_Z_EN: 0
; COMPUTE_PGM_RSRC2:TIDIG_COMP_CNT: 0
; COMPUTE_PGM_RSRC3_GFX90A:ACCUM_OFFSET: 3
; COMPUTE_PGM_RSRC3_GFX90A:TG_SPLIT: 0
	.section	.text._Z6kernelI14inclusive_scanILN6hipcub18BlockScanAlgorithmE1EEfLj256ELj3ELj100EEvPKT0_PS4_S4_,"axG",@progbits,_Z6kernelI14inclusive_scanILN6hipcub18BlockScanAlgorithmE1EEfLj256ELj3ELj100EEvPKT0_PS4_S4_,comdat
	.protected	_Z6kernelI14inclusive_scanILN6hipcub18BlockScanAlgorithmE1EEfLj256ELj3ELj100EEvPKT0_PS4_S4_ ; -- Begin function _Z6kernelI14inclusive_scanILN6hipcub18BlockScanAlgorithmE1EEfLj256ELj3ELj100EEvPKT0_PS4_S4_
	.globl	_Z6kernelI14inclusive_scanILN6hipcub18BlockScanAlgorithmE1EEfLj256ELj3ELj100EEvPKT0_PS4_S4_
	.p2align	8
	.type	_Z6kernelI14inclusive_scanILN6hipcub18BlockScanAlgorithmE1EEfLj256ELj3ELj100EEvPKT0_PS4_S4_,@function
_Z6kernelI14inclusive_scanILN6hipcub18BlockScanAlgorithmE1EEfLj256ELj3ELj100EEvPKT0_PS4_S4_: ; @_Z6kernelI14inclusive_scanILN6hipcub18BlockScanAlgorithmE1EEfLj256ELj3ELj100EEvPKT0_PS4_S4_
; %bb.0:
	s_load_dword s3, s[0:1], 0x24
	s_load_dwordx4 s[4:7], s[0:1], 0x0
	v_mov_b32_e32 v3, 0
	v_mov_b32_e32 v5, v3
	;; [unrolled: 1-line block ×3, first 2 shown]
	s_waitcnt lgkmcnt(0)
	s_and_b32 s0, s3, 0xffff
	s_mul_i32 s2, s2, s0
	v_add_u32_e32 v1, s2, v0
	v_lshl_add_u32 v2, v1, 1, v1
	v_lshl_add_u64 v[10:11], v[2:3], 2, s[4:5]
	v_add_u32_e32 v4, 1, v2
	v_add_u32_e32 v6, 2, v2
	v_lshl_add_u64 v[12:13], v[4:5], 2, s[4:5]
	v_lshl_add_u64 v[14:15], v[6:7], 2, s[4:5]
	global_load_dword v9, v[10:11], off
	global_load_dword v8, v[12:13], off
	;; [unrolled: 1-line block ×3, first 2 shown]
	v_lshrrev_b32_e32 v10, 5, v0
	v_add_lshl_u32 v10, v10, v0, 2
	v_cmp_gt_u32_e32 vcc, 64, v0
	v_cmp_eq_u32_e64 s[0:1], 0, v0
	v_cmp_ne_u32_e64 s[2:3], 0, v0
	v_lshlrev_b32_e32 v11, 2, v0
	v_lshrrev_b32_e32 v12, 3, v0
	v_add_u32_e32 v0, -1, v0
	v_add_lshl_u32 v11, v12, v11, 2
	v_lshrrev_b32_e32 v12, 5, v0
	v_add_lshl_u32 v0, v12, v0, 2
	v_mbcnt_lo_u32_b32 v12, -1, 0
	v_mbcnt_hi_u32_b32 v12, -1, v12
	s_movk_i32 s10, 0x64
	v_and_b32_e32 v13, 15, v12
	v_and_b32_e32 v14, 16, v12
	v_add_u32_e32 v15, -1, v12
	v_and_b32_e32 v16, 64, v12
	s_branch .LBB31_2
.LBB31_1:                               ;   in Loop: Header=BB31_2 Depth=1
	s_or_b64 exec, exec, s[4:5]
	s_waitcnt lgkmcnt(0)
	v_add_f32_e32 v17, v9, v17
	v_cndmask_b32_e64 v9, v17, v9, s[0:1]
	v_add_f32_e32 v8, v8, v9
	s_add_i32 s10, s10, -1
	s_cmp_lg_u32 s10, 0
	v_add_f32_e32 v1, v1, v8
	s_cbranch_scc0 .LBB31_6
.LBB31_2:                               ; =>This Inner Loop Header: Depth=1
	s_waitcnt vmcnt(1)
	v_add_f32_e32 v17, v9, v8
	s_waitcnt vmcnt(0)
	v_add_f32_e32 v17, v1, v17
	ds_write_b32 v10, v17
	s_waitcnt lgkmcnt(0)
	s_barrier
	s_and_saveexec_b64 s[8:9], vcc
	s_cbranch_execz .LBB31_4
; %bb.3:                                ;   in Loop: Header=BB31_2 Depth=1
	ds_read2_b32 v[18:19], v11 offset1:1
	ds_read2_b32 v[20:21], v11 offset0:2 offset1:3
	v_cmp_eq_u32_e64 s[4:5], 0, v13
	s_waitcnt lgkmcnt(1)
	v_add_f32_e32 v22, v18, v19
	s_waitcnt lgkmcnt(0)
	v_add_f32_e32 v22, v22, v20
	v_add_f32_e32 v22, v22, v21
	s_nop 1
	v_mov_b32_dpp v23, v22 row_shr:1 row_mask:0xf bank_mask:0xf
	v_add_f32_e32 v23, v22, v23
	v_cndmask_b32_e64 v22, v23, v22, s[4:5]
	v_cmp_lt_u32_e64 s[4:5], 1, v13
	s_nop 0
	v_mov_b32_dpp v23, v22 row_shr:2 row_mask:0xf bank_mask:0xf
	v_add_f32_e32 v23, v22, v23
	v_cndmask_b32_e64 v22, v22, v23, s[4:5]
	v_cmp_lt_u32_e64 s[4:5], 3, v13
	;; [unrolled: 5-line block ×3, first 2 shown]
	s_nop 0
	v_mov_b32_dpp v23, v22 row_shr:8 row_mask:0xf bank_mask:0xf
	v_add_f32_e32 v23, v22, v23
	v_cndmask_b32_e64 v22, v22, v23, s[4:5]
	v_cmp_eq_u32_e64 s[4:5], 0, v14
	s_nop 0
	v_mov_b32_dpp v23, v22 row_bcast:15 row_mask:0xf bank_mask:0xf
	v_add_f32_e32 v23, v22, v23
	v_cndmask_b32_e64 v22, v23, v22, s[4:5]
	v_cmp_lt_u32_e64 s[4:5], 31, v12
	s_nop 0
	v_mov_b32_dpp v23, v22 row_bcast:31 row_mask:0xf bank_mask:0xf
	v_add_f32_e32 v23, v22, v23
	v_cndmask_b32_e64 v22, v22, v23, s[4:5]
	v_cmp_lt_i32_e64 s[4:5], v15, v16
	s_nop 1
	v_cndmask_b32_e64 v23, v15, v12, s[4:5]
	v_lshlrev_b32_e32 v23, 2, v23
	ds_bpermute_b32 v22, v23, v22
	s_waitcnt lgkmcnt(0)
	v_add_f32_e32 v18, v18, v22
	v_cndmask_b32_e64 v18, v18, v17, s[0:1]
	v_add_f32_e32 v19, v19, v18
	ds_write2_b32 v11, v18, v19 offset1:1
	v_add_f32_e32 v18, v20, v19
	v_add_f32_e32 v19, v21, v18
	ds_write2_b32 v11, v18, v19 offset0:2 offset1:3
.LBB31_4:                               ;   in Loop: Header=BB31_2 Depth=1
	s_or_b64 exec, exec, s[8:9]
	s_waitcnt lgkmcnt(0)
	s_barrier
	s_and_saveexec_b64 s[4:5], s[2:3]
	s_cbranch_execz .LBB31_1
; %bb.5:                                ;   in Loop: Header=BB31_2 Depth=1
	ds_read_b32 v17, v0
	s_branch .LBB31_1
.LBB31_6:
	v_lshl_add_u64 v[2:3], v[2:3], 2, s[6:7]
	global_store_dword v[2:3], v9, off
	v_lshl_add_u64 v[2:3], v[4:5], 2, s[6:7]
	global_store_dword v[2:3], v8, off
	;; [unrolled: 2-line block ×3, first 2 shown]
	s_endpgm
	.section	.rodata,"a",@progbits
	.p2align	6, 0x0
	.amdhsa_kernel _Z6kernelI14inclusive_scanILN6hipcub18BlockScanAlgorithmE1EEfLj256ELj3ELj100EEvPKT0_PS4_S4_
		.amdhsa_group_segment_fixed_size 1056
		.amdhsa_private_segment_fixed_size 0
		.amdhsa_kernarg_size 280
		.amdhsa_user_sgpr_count 2
		.amdhsa_user_sgpr_dispatch_ptr 0
		.amdhsa_user_sgpr_queue_ptr 0
		.amdhsa_user_sgpr_kernarg_segment_ptr 1
		.amdhsa_user_sgpr_dispatch_id 0
		.amdhsa_user_sgpr_kernarg_preload_length 0
		.amdhsa_user_sgpr_kernarg_preload_offset 0
		.amdhsa_user_sgpr_private_segment_size 0
		.amdhsa_uses_dynamic_stack 0
		.amdhsa_enable_private_segment 0
		.amdhsa_system_sgpr_workgroup_id_x 1
		.amdhsa_system_sgpr_workgroup_id_y 0
		.amdhsa_system_sgpr_workgroup_id_z 0
		.amdhsa_system_sgpr_workgroup_info 0
		.amdhsa_system_vgpr_workitem_id 0
		.amdhsa_next_free_vgpr 24
		.amdhsa_next_free_sgpr 11
		.amdhsa_accum_offset 24
		.amdhsa_reserve_vcc 1
		.amdhsa_float_round_mode_32 0
		.amdhsa_float_round_mode_16_64 0
		.amdhsa_float_denorm_mode_32 3
		.amdhsa_float_denorm_mode_16_64 3
		.amdhsa_dx10_clamp 1
		.amdhsa_ieee_mode 1
		.amdhsa_fp16_overflow 0
		.amdhsa_tg_split 0
		.amdhsa_exception_fp_ieee_invalid_op 0
		.amdhsa_exception_fp_denorm_src 0
		.amdhsa_exception_fp_ieee_div_zero 0
		.amdhsa_exception_fp_ieee_overflow 0
		.amdhsa_exception_fp_ieee_underflow 0
		.amdhsa_exception_fp_ieee_inexact 0
		.amdhsa_exception_int_div_zero 0
	.end_amdhsa_kernel
	.section	.text._Z6kernelI14inclusive_scanILN6hipcub18BlockScanAlgorithmE1EEfLj256ELj3ELj100EEvPKT0_PS4_S4_,"axG",@progbits,_Z6kernelI14inclusive_scanILN6hipcub18BlockScanAlgorithmE1EEfLj256ELj3ELj100EEvPKT0_PS4_S4_,comdat
.Lfunc_end31:
	.size	_Z6kernelI14inclusive_scanILN6hipcub18BlockScanAlgorithmE1EEfLj256ELj3ELj100EEvPKT0_PS4_S4_, .Lfunc_end31-_Z6kernelI14inclusive_scanILN6hipcub18BlockScanAlgorithmE1EEfLj256ELj3ELj100EEvPKT0_PS4_S4_
                                        ; -- End function
	.section	.AMDGPU.csdata,"",@progbits
; Kernel info:
; codeLenInByte = 684
; NumSgprs: 17
; NumVgprs: 24
; NumAgprs: 0
; TotalNumVgprs: 24
; ScratchSize: 0
; MemoryBound: 0
; FloatMode: 240
; IeeeMode: 1
; LDSByteSize: 1056 bytes/workgroup (compile time only)
; SGPRBlocks: 2
; VGPRBlocks: 2
; NumSGPRsForWavesPerEU: 17
; NumVGPRsForWavesPerEU: 24
; AccumOffset: 24
; Occupancy: 8
; WaveLimiterHint : 0
; COMPUTE_PGM_RSRC2:SCRATCH_EN: 0
; COMPUTE_PGM_RSRC2:USER_SGPR: 2
; COMPUTE_PGM_RSRC2:TRAP_HANDLER: 0
; COMPUTE_PGM_RSRC2:TGID_X_EN: 1
; COMPUTE_PGM_RSRC2:TGID_Y_EN: 0
; COMPUTE_PGM_RSRC2:TGID_Z_EN: 0
; COMPUTE_PGM_RSRC2:TIDIG_COMP_CNT: 0
; COMPUTE_PGM_RSRC3_GFX90A:ACCUM_OFFSET: 5
; COMPUTE_PGM_RSRC3_GFX90A:TG_SPLIT: 0
	.section	.text._Z6kernelI14inclusive_scanILN6hipcub18BlockScanAlgorithmE1EEfLj256ELj4ELj100EEvPKT0_PS4_S4_,"axG",@progbits,_Z6kernelI14inclusive_scanILN6hipcub18BlockScanAlgorithmE1EEfLj256ELj4ELj100EEvPKT0_PS4_S4_,comdat
	.protected	_Z6kernelI14inclusive_scanILN6hipcub18BlockScanAlgorithmE1EEfLj256ELj4ELj100EEvPKT0_PS4_S4_ ; -- Begin function _Z6kernelI14inclusive_scanILN6hipcub18BlockScanAlgorithmE1EEfLj256ELj4ELj100EEvPKT0_PS4_S4_
	.globl	_Z6kernelI14inclusive_scanILN6hipcub18BlockScanAlgorithmE1EEfLj256ELj4ELj100EEvPKT0_PS4_S4_
	.p2align	8
	.type	_Z6kernelI14inclusive_scanILN6hipcub18BlockScanAlgorithmE1EEfLj256ELj4ELj100EEvPKT0_PS4_S4_,@function
_Z6kernelI14inclusive_scanILN6hipcub18BlockScanAlgorithmE1EEfLj256ELj4ELj100EEvPKT0_PS4_S4_: ; @_Z6kernelI14inclusive_scanILN6hipcub18BlockScanAlgorithmE1EEfLj256ELj4ELj100EEvPKT0_PS4_S4_
; %bb.0:
	s_load_dwordx4 s[4:7], s[0:1], 0x0
	s_load_dword s3, s[0:1], 0x24
	v_mov_b32_e32 v7, 0
	v_lshrrev_b32_e32 v1, 5, v0
	v_add_lshl_u32 v1, v1, v0, 2
	s_waitcnt lgkmcnt(0)
	v_mov_b32_e32 v2, s4
	s_and_b32 s0, s3, 0xffff
	s_mul_i32 s2, s2, s0
	v_mov_b32_e32 v3, s5
	v_add_lshl_u32 v6, s2, v0, 2
	v_lshl_add_u64 v[2:3], v[6:7], 2, v[2:3]
	global_load_dwordx4 v[2:5], v[2:3], off
	v_cmp_gt_u32_e32 vcc, 64, v0
	v_cmp_eq_u32_e64 s[0:1], 0, v0
	v_cmp_ne_u32_e64 s[2:3], 0, v0
	v_lshlrev_b32_e32 v8, 2, v0
	v_lshrrev_b32_e32 v9, 3, v0
	v_add_u32_e32 v0, -1, v0
	v_add_lshl_u32 v8, v9, v8, 2
	v_lshrrev_b32_e32 v9, 5, v0
	v_add_lshl_u32 v0, v9, v0, 2
	v_mbcnt_lo_u32_b32 v9, -1, 0
	v_mbcnt_hi_u32_b32 v9, -1, v9
	s_movk_i32 s10, 0x64
	v_and_b32_e32 v10, 15, v9
	v_and_b32_e32 v11, 16, v9
	v_add_u32_e32 v12, -1, v9
	v_and_b32_e32 v13, 64, v9
	s_branch .LBB32_2
.LBB32_1:                               ;   in Loop: Header=BB32_2 Depth=1
	s_or_b64 exec, exec, s[4:5]
	s_waitcnt lgkmcnt(0)
	v_add_f32_e32 v14, v2, v14
	v_cndmask_b32_e64 v2, v14, v2, s[0:1]
	v_add_f32_e32 v3, v3, v2
	v_add_f32_e32 v4, v4, v3
	s_add_i32 s10, s10, -1
	s_cmp_lg_u32 s10, 0
	v_add_f32_e32 v5, v5, v4
	s_cbranch_scc0 .LBB32_6
.LBB32_2:                               ; =>This Inner Loop Header: Depth=1
	s_waitcnt vmcnt(0)
	v_add_f32_e32 v14, v2, v3
	v_add_f32_e32 v14, v4, v14
	;; [unrolled: 1-line block ×3, first 2 shown]
	ds_write_b32 v1, v14
	s_waitcnt lgkmcnt(0)
	s_barrier
	s_and_saveexec_b64 s[8:9], vcc
	s_cbranch_execz .LBB32_4
; %bb.3:                                ;   in Loop: Header=BB32_2 Depth=1
	ds_read2_b32 v[16:17], v8 offset1:1
	ds_read2_b32 v[18:19], v8 offset0:2 offset1:3
	v_cmp_eq_u32_e64 s[4:5], 0, v10
	s_waitcnt lgkmcnt(1)
	v_add_f32_e32 v15, v16, v17
	s_waitcnt lgkmcnt(0)
	v_add_f32_e32 v15, v15, v18
	v_add_f32_e32 v15, v15, v19
	s_nop 1
	v_mov_b32_dpp v20, v15 row_shr:1 row_mask:0xf bank_mask:0xf
	v_add_f32_e32 v20, v15, v20
	v_cndmask_b32_e64 v15, v20, v15, s[4:5]
	v_cmp_lt_u32_e64 s[4:5], 1, v10
	s_nop 0
	v_mov_b32_dpp v20, v15 row_shr:2 row_mask:0xf bank_mask:0xf
	v_add_f32_e32 v20, v15, v20
	v_cndmask_b32_e64 v15, v15, v20, s[4:5]
	v_cmp_lt_u32_e64 s[4:5], 3, v10
	;; [unrolled: 5-line block ×3, first 2 shown]
	s_nop 0
	v_mov_b32_dpp v20, v15 row_shr:8 row_mask:0xf bank_mask:0xf
	v_add_f32_e32 v20, v15, v20
	v_cndmask_b32_e64 v15, v15, v20, s[4:5]
	v_cmp_eq_u32_e64 s[4:5], 0, v11
	s_nop 0
	v_mov_b32_dpp v20, v15 row_bcast:15 row_mask:0xf bank_mask:0xf
	v_add_f32_e32 v20, v15, v20
	v_cndmask_b32_e64 v15, v20, v15, s[4:5]
	v_cmp_lt_u32_e64 s[4:5], 31, v9
	s_nop 0
	v_mov_b32_dpp v20, v15 row_bcast:31 row_mask:0xf bank_mask:0xf
	v_add_f32_e32 v20, v15, v20
	v_cndmask_b32_e64 v15, v15, v20, s[4:5]
	v_cmp_lt_i32_e64 s[4:5], v12, v13
	s_nop 1
	v_cndmask_b32_e64 v20, v12, v9, s[4:5]
	v_lshlrev_b32_e32 v20, 2, v20
	ds_bpermute_b32 v15, v20, v15
	s_waitcnt lgkmcnt(0)
	v_add_f32_e32 v15, v16, v15
	v_cndmask_b32_e64 v15, v15, v14, s[0:1]
	v_add_f32_e32 v16, v17, v15
	ds_write2_b32 v8, v15, v16 offset1:1
	v_add_f32_e32 v15, v18, v16
	v_add_f32_e32 v16, v19, v15
	ds_write2_b32 v8, v15, v16 offset0:2 offset1:3
.LBB32_4:                               ;   in Loop: Header=BB32_2 Depth=1
	s_or_b64 exec, exec, s[8:9]
	s_waitcnt lgkmcnt(0)
	s_barrier
	s_and_saveexec_b64 s[4:5], s[2:3]
	s_cbranch_execz .LBB32_1
; %bb.5:                                ;   in Loop: Header=BB32_2 Depth=1
	ds_read_b32 v14, v0
	s_branch .LBB32_1
.LBB32_6:
	v_mov_b32_e32 v0, s6
	v_mov_b32_e32 v1, s7
	v_lshl_add_u64 v[0:1], v[6:7], 2, v[0:1]
	global_store_dwordx4 v[0:1], v[2:5], off
	s_endpgm
	.section	.rodata,"a",@progbits
	.p2align	6, 0x0
	.amdhsa_kernel _Z6kernelI14inclusive_scanILN6hipcub18BlockScanAlgorithmE1EEfLj256ELj4ELj100EEvPKT0_PS4_S4_
		.amdhsa_group_segment_fixed_size 1056
		.amdhsa_private_segment_fixed_size 0
		.amdhsa_kernarg_size 280
		.amdhsa_user_sgpr_count 2
		.amdhsa_user_sgpr_dispatch_ptr 0
		.amdhsa_user_sgpr_queue_ptr 0
		.amdhsa_user_sgpr_kernarg_segment_ptr 1
		.amdhsa_user_sgpr_dispatch_id 0
		.amdhsa_user_sgpr_kernarg_preload_length 0
		.amdhsa_user_sgpr_kernarg_preload_offset 0
		.amdhsa_user_sgpr_private_segment_size 0
		.amdhsa_uses_dynamic_stack 0
		.amdhsa_enable_private_segment 0
		.amdhsa_system_sgpr_workgroup_id_x 1
		.amdhsa_system_sgpr_workgroup_id_y 0
		.amdhsa_system_sgpr_workgroup_id_z 0
		.amdhsa_system_sgpr_workgroup_info 0
		.amdhsa_system_vgpr_workitem_id 0
		.amdhsa_next_free_vgpr 21
		.amdhsa_next_free_sgpr 11
		.amdhsa_accum_offset 24
		.amdhsa_reserve_vcc 1
		.amdhsa_float_round_mode_32 0
		.amdhsa_float_round_mode_16_64 0
		.amdhsa_float_denorm_mode_32 3
		.amdhsa_float_denorm_mode_16_64 3
		.amdhsa_dx10_clamp 1
		.amdhsa_ieee_mode 1
		.amdhsa_fp16_overflow 0
		.amdhsa_tg_split 0
		.amdhsa_exception_fp_ieee_invalid_op 0
		.amdhsa_exception_fp_denorm_src 0
		.amdhsa_exception_fp_ieee_div_zero 0
		.amdhsa_exception_fp_ieee_overflow 0
		.amdhsa_exception_fp_ieee_underflow 0
		.amdhsa_exception_fp_ieee_inexact 0
		.amdhsa_exception_int_div_zero 0
	.end_amdhsa_kernel
	.section	.text._Z6kernelI14inclusive_scanILN6hipcub18BlockScanAlgorithmE1EEfLj256ELj4ELj100EEvPKT0_PS4_S4_,"axG",@progbits,_Z6kernelI14inclusive_scanILN6hipcub18BlockScanAlgorithmE1EEfLj256ELj4ELj100EEvPKT0_PS4_S4_,comdat
.Lfunc_end32:
	.size	_Z6kernelI14inclusive_scanILN6hipcub18BlockScanAlgorithmE1EEfLj256ELj4ELj100EEvPKT0_PS4_S4_, .Lfunc_end32-_Z6kernelI14inclusive_scanILN6hipcub18BlockScanAlgorithmE1EEfLj256ELj4ELj100EEvPKT0_PS4_S4_
                                        ; -- End function
	.section	.AMDGPU.csdata,"",@progbits
; Kernel info:
; codeLenInByte = 620
; NumSgprs: 17
; NumVgprs: 21
; NumAgprs: 0
; TotalNumVgprs: 21
; ScratchSize: 0
; MemoryBound: 0
; FloatMode: 240
; IeeeMode: 1
; LDSByteSize: 1056 bytes/workgroup (compile time only)
; SGPRBlocks: 2
; VGPRBlocks: 2
; NumSGPRsForWavesPerEU: 17
; NumVGPRsForWavesPerEU: 21
; AccumOffset: 24
; Occupancy: 8
; WaveLimiterHint : 0
; COMPUTE_PGM_RSRC2:SCRATCH_EN: 0
; COMPUTE_PGM_RSRC2:USER_SGPR: 2
; COMPUTE_PGM_RSRC2:TRAP_HANDLER: 0
; COMPUTE_PGM_RSRC2:TGID_X_EN: 1
; COMPUTE_PGM_RSRC2:TGID_Y_EN: 0
; COMPUTE_PGM_RSRC2:TGID_Z_EN: 0
; COMPUTE_PGM_RSRC2:TIDIG_COMP_CNT: 0
; COMPUTE_PGM_RSRC3_GFX90A:ACCUM_OFFSET: 5
; COMPUTE_PGM_RSRC3_GFX90A:TG_SPLIT: 0
	.section	.text._Z6kernelI14inclusive_scanILN6hipcub18BlockScanAlgorithmE1EEfLj256ELj8ELj100EEvPKT0_PS4_S4_,"axG",@progbits,_Z6kernelI14inclusive_scanILN6hipcub18BlockScanAlgorithmE1EEfLj256ELj8ELj100EEvPKT0_PS4_S4_,comdat
	.protected	_Z6kernelI14inclusive_scanILN6hipcub18BlockScanAlgorithmE1EEfLj256ELj8ELj100EEvPKT0_PS4_S4_ ; -- Begin function _Z6kernelI14inclusive_scanILN6hipcub18BlockScanAlgorithmE1EEfLj256ELj8ELj100EEvPKT0_PS4_S4_
	.globl	_Z6kernelI14inclusive_scanILN6hipcub18BlockScanAlgorithmE1EEfLj256ELj8ELj100EEvPKT0_PS4_S4_
	.p2align	8
	.type	_Z6kernelI14inclusive_scanILN6hipcub18BlockScanAlgorithmE1EEfLj256ELj8ELj100EEvPKT0_PS4_S4_,@function
_Z6kernelI14inclusive_scanILN6hipcub18BlockScanAlgorithmE1EEfLj256ELj8ELj100EEvPKT0_PS4_S4_: ; @_Z6kernelI14inclusive_scanILN6hipcub18BlockScanAlgorithmE1EEfLj256ELj8ELj100EEvPKT0_PS4_S4_
; %bb.0:
	s_load_dwordx4 s[4:7], s[0:1], 0x0
	s_load_dword s3, s[0:1], 0x24
	v_mov_b32_e32 v11, 0
	v_lshrrev_b32_e32 v1, 5, v0
	v_add_lshl_u32 v1, v1, v0, 2
	s_waitcnt lgkmcnt(0)
	v_mov_b32_e32 v2, s4
	s_and_b32 s0, s3, 0xffff
	s_mul_i32 s2, s2, s0
	v_mov_b32_e32 v3, s5
	v_add_lshl_u32 v10, s2, v0, 3
	v_lshl_add_u64 v[12:13], v[10:11], 2, v[2:3]
	global_load_dwordx4 v[2:5], v[12:13], off
	global_load_dwordx4 v[6:9], v[12:13], off offset:16
	v_cmp_gt_u32_e32 vcc, 64, v0
	v_cmp_eq_u32_e64 s[0:1], 0, v0
	v_cmp_ne_u32_e64 s[2:3], 0, v0
	v_lshlrev_b32_e32 v12, 2, v0
	v_lshrrev_b32_e32 v13, 3, v0
	v_add_u32_e32 v0, -1, v0
	v_add_lshl_u32 v12, v13, v12, 2
	v_lshrrev_b32_e32 v13, 5, v0
	v_add_lshl_u32 v0, v13, v0, 2
	v_mbcnt_lo_u32_b32 v13, -1, 0
	v_mbcnt_hi_u32_b32 v13, -1, v13
	s_movk_i32 s10, 0x64
	v_and_b32_e32 v14, 15, v13
	v_and_b32_e32 v15, 16, v13
	v_add_u32_e32 v16, -1, v13
	v_and_b32_e32 v17, 64, v13
	s_branch .LBB33_2
.LBB33_1:                               ;   in Loop: Header=BB33_2 Depth=1
	s_or_b64 exec, exec, s[4:5]
	s_waitcnt lgkmcnt(0)
	v_add_f32_e32 v18, v2, v18
	v_cndmask_b32_e64 v2, v18, v2, s[0:1]
	v_add_f32_e32 v3, v3, v2
	v_add_f32_e32 v4, v4, v3
	;; [unrolled: 1-line block ×6, first 2 shown]
	s_add_i32 s10, s10, -1
	s_cmp_lg_u32 s10, 0
	v_add_f32_e32 v9, v9, v8
	s_cbranch_scc0 .LBB33_6
.LBB33_2:                               ; =>This Inner Loop Header: Depth=1
	s_waitcnt vmcnt(1)
	v_add_f32_e32 v18, v2, v3
	v_add_f32_e32 v18, v4, v18
	;; [unrolled: 1-line block ×3, first 2 shown]
	s_waitcnt vmcnt(0)
	v_add_f32_e32 v18, v6, v18
	v_add_f32_e32 v18, v7, v18
	;; [unrolled: 1-line block ×4, first 2 shown]
	ds_write_b32 v1, v18
	s_waitcnt lgkmcnt(0)
	s_barrier
	s_and_saveexec_b64 s[8:9], vcc
	s_cbranch_execz .LBB33_4
; %bb.3:                                ;   in Loop: Header=BB33_2 Depth=1
	ds_read2_b32 v[20:21], v12 offset1:1
	ds_read2_b32 v[22:23], v12 offset0:2 offset1:3
	v_cmp_eq_u32_e64 s[4:5], 0, v14
	s_waitcnt lgkmcnt(1)
	v_add_f32_e32 v19, v20, v21
	s_waitcnt lgkmcnt(0)
	v_add_f32_e32 v19, v19, v22
	v_add_f32_e32 v19, v19, v23
	s_nop 1
	v_mov_b32_dpp v24, v19 row_shr:1 row_mask:0xf bank_mask:0xf
	v_add_f32_e32 v24, v19, v24
	v_cndmask_b32_e64 v19, v24, v19, s[4:5]
	v_cmp_lt_u32_e64 s[4:5], 1, v14
	s_nop 0
	v_mov_b32_dpp v24, v19 row_shr:2 row_mask:0xf bank_mask:0xf
	v_add_f32_e32 v24, v19, v24
	v_cndmask_b32_e64 v19, v19, v24, s[4:5]
	v_cmp_lt_u32_e64 s[4:5], 3, v14
	s_nop 0
	v_mov_b32_dpp v24, v19 row_shr:4 row_mask:0xf bank_mask:0xf
	v_add_f32_e32 v24, v19, v24
	v_cndmask_b32_e64 v19, v19, v24, s[4:5]
	v_cmp_lt_u32_e64 s[4:5], 7, v14
	s_nop 0
	v_mov_b32_dpp v24, v19 row_shr:8 row_mask:0xf bank_mask:0xf
	v_add_f32_e32 v24, v19, v24
	v_cndmask_b32_e64 v19, v19, v24, s[4:5]
	v_cmp_eq_u32_e64 s[4:5], 0, v15
	s_nop 0
	v_mov_b32_dpp v24, v19 row_bcast:15 row_mask:0xf bank_mask:0xf
	v_add_f32_e32 v24, v19, v24
	v_cndmask_b32_e64 v19, v24, v19, s[4:5]
	v_cmp_lt_u32_e64 s[4:5], 31, v13
	s_nop 0
	v_mov_b32_dpp v24, v19 row_bcast:31 row_mask:0xf bank_mask:0xf
	v_add_f32_e32 v24, v19, v24
	v_cndmask_b32_e64 v19, v19, v24, s[4:5]
	v_cmp_lt_i32_e64 s[4:5], v16, v17
	s_nop 1
	v_cndmask_b32_e64 v24, v16, v13, s[4:5]
	v_lshlrev_b32_e32 v24, 2, v24
	ds_bpermute_b32 v19, v24, v19
	s_waitcnt lgkmcnt(0)
	v_add_f32_e32 v19, v20, v19
	v_cndmask_b32_e64 v19, v19, v18, s[0:1]
	v_add_f32_e32 v20, v21, v19
	ds_write2_b32 v12, v19, v20 offset1:1
	v_add_f32_e32 v19, v22, v20
	v_add_f32_e32 v20, v23, v19
	ds_write2_b32 v12, v19, v20 offset0:2 offset1:3
.LBB33_4:                               ;   in Loop: Header=BB33_2 Depth=1
	s_or_b64 exec, exec, s[8:9]
	s_waitcnt lgkmcnt(0)
	s_barrier
	s_and_saveexec_b64 s[4:5], s[2:3]
	s_cbranch_execz .LBB33_1
; %bb.5:                                ;   in Loop: Header=BB33_2 Depth=1
	ds_read_b32 v18, v0
	s_branch .LBB33_1
.LBB33_6:
	v_mov_b32_e32 v0, s6
	v_mov_b32_e32 v1, s7
	v_lshl_add_u64 v[10:11], v[10:11], 2, v[0:1]
	global_store_dwordx3 v[10:11], v[2:4], off
	v_mov_b32_e32 v0, v5
	v_mov_b32_e32 v1, v6
	;; [unrolled: 1-line block ×4, first 2 shown]
	global_store_dwordx4 v[10:11], v[0:3], off offset:12
	global_store_dword v[10:11], v9, off offset:28
	s_endpgm
	.section	.rodata,"a",@progbits
	.p2align	6, 0x0
	.amdhsa_kernel _Z6kernelI14inclusive_scanILN6hipcub18BlockScanAlgorithmE1EEfLj256ELj8ELj100EEvPKT0_PS4_S4_
		.amdhsa_group_segment_fixed_size 1056
		.amdhsa_private_segment_fixed_size 0
		.amdhsa_kernarg_size 280
		.amdhsa_user_sgpr_count 2
		.amdhsa_user_sgpr_dispatch_ptr 0
		.amdhsa_user_sgpr_queue_ptr 0
		.amdhsa_user_sgpr_kernarg_segment_ptr 1
		.amdhsa_user_sgpr_dispatch_id 0
		.amdhsa_user_sgpr_kernarg_preload_length 0
		.amdhsa_user_sgpr_kernarg_preload_offset 0
		.amdhsa_user_sgpr_private_segment_size 0
		.amdhsa_uses_dynamic_stack 0
		.amdhsa_enable_private_segment 0
		.amdhsa_system_sgpr_workgroup_id_x 1
		.amdhsa_system_sgpr_workgroup_id_y 0
		.amdhsa_system_sgpr_workgroup_id_z 0
		.amdhsa_system_sgpr_workgroup_info 0
		.amdhsa_system_vgpr_workitem_id 0
		.amdhsa_next_free_vgpr 25
		.amdhsa_next_free_sgpr 11
		.amdhsa_accum_offset 28
		.amdhsa_reserve_vcc 1
		.amdhsa_float_round_mode_32 0
		.amdhsa_float_round_mode_16_64 0
		.amdhsa_float_denorm_mode_32 3
		.amdhsa_float_denorm_mode_16_64 3
		.amdhsa_dx10_clamp 1
		.amdhsa_ieee_mode 1
		.amdhsa_fp16_overflow 0
		.amdhsa_tg_split 0
		.amdhsa_exception_fp_ieee_invalid_op 0
		.amdhsa_exception_fp_denorm_src 0
		.amdhsa_exception_fp_ieee_div_zero 0
		.amdhsa_exception_fp_ieee_overflow 0
		.amdhsa_exception_fp_ieee_underflow 0
		.amdhsa_exception_fp_ieee_inexact 0
		.amdhsa_exception_int_div_zero 0
	.end_amdhsa_kernel
	.section	.text._Z6kernelI14inclusive_scanILN6hipcub18BlockScanAlgorithmE1EEfLj256ELj8ELj100EEvPKT0_PS4_S4_,"axG",@progbits,_Z6kernelI14inclusive_scanILN6hipcub18BlockScanAlgorithmE1EEfLj256ELj8ELj100EEvPKT0_PS4_S4_,comdat
.Lfunc_end33:
	.size	_Z6kernelI14inclusive_scanILN6hipcub18BlockScanAlgorithmE1EEfLj256ELj8ELj100EEvPKT0_PS4_S4_, .Lfunc_end33-_Z6kernelI14inclusive_scanILN6hipcub18BlockScanAlgorithmE1EEfLj256ELj8ELj100EEvPKT0_PS4_S4_
                                        ; -- End function
	.section	.AMDGPU.csdata,"",@progbits
; Kernel info:
; codeLenInByte = 696
; NumSgprs: 17
; NumVgprs: 25
; NumAgprs: 0
; TotalNumVgprs: 25
; ScratchSize: 0
; MemoryBound: 0
; FloatMode: 240
; IeeeMode: 1
; LDSByteSize: 1056 bytes/workgroup (compile time only)
; SGPRBlocks: 2
; VGPRBlocks: 3
; NumSGPRsForWavesPerEU: 17
; NumVGPRsForWavesPerEU: 25
; AccumOffset: 28
; Occupancy: 8
; WaveLimiterHint : 0
; COMPUTE_PGM_RSRC2:SCRATCH_EN: 0
; COMPUTE_PGM_RSRC2:USER_SGPR: 2
; COMPUTE_PGM_RSRC2:TRAP_HANDLER: 0
; COMPUTE_PGM_RSRC2:TGID_X_EN: 1
; COMPUTE_PGM_RSRC2:TGID_Y_EN: 0
; COMPUTE_PGM_RSRC2:TGID_Z_EN: 0
; COMPUTE_PGM_RSRC2:TIDIG_COMP_CNT: 0
; COMPUTE_PGM_RSRC3_GFX90A:ACCUM_OFFSET: 6
; COMPUTE_PGM_RSRC3_GFX90A:TG_SPLIT: 0
	.section	.text._Z6kernelI14inclusive_scanILN6hipcub18BlockScanAlgorithmE1EEfLj256ELj11ELj100EEvPKT0_PS4_S4_,"axG",@progbits,_Z6kernelI14inclusive_scanILN6hipcub18BlockScanAlgorithmE1EEfLj256ELj11ELj100EEvPKT0_PS4_S4_,comdat
	.protected	_Z6kernelI14inclusive_scanILN6hipcub18BlockScanAlgorithmE1EEfLj256ELj11ELj100EEvPKT0_PS4_S4_ ; -- Begin function _Z6kernelI14inclusive_scanILN6hipcub18BlockScanAlgorithmE1EEfLj256ELj11ELj100EEvPKT0_PS4_S4_
	.globl	_Z6kernelI14inclusive_scanILN6hipcub18BlockScanAlgorithmE1EEfLj256ELj11ELj100EEvPKT0_PS4_S4_
	.p2align	8
	.type	_Z6kernelI14inclusive_scanILN6hipcub18BlockScanAlgorithmE1EEfLj256ELj11ELj100EEvPKT0_PS4_S4_,@function
_Z6kernelI14inclusive_scanILN6hipcub18BlockScanAlgorithmE1EEfLj256ELj11ELj100EEvPKT0_PS4_S4_: ; @_Z6kernelI14inclusive_scanILN6hipcub18BlockScanAlgorithmE1EEfLj256ELj11ELj100EEvPKT0_PS4_S4_
; %bb.0:
	s_load_dword s3, s[0:1], 0x24
	s_load_dwordx4 s[4:7], s[0:1], 0x0
	v_mov_b32_e32 v3, 0
	v_mov_b32_e32 v5, v3
	;; [unrolled: 1-line block ×3, first 2 shown]
	s_waitcnt lgkmcnt(0)
	s_and_b32 s0, s3, 0xffff
	s_mul_i32 s2, s2, s0
	v_add_u32_e32 v1, s2, v0
	v_mul_lo_u32 v2, v1, 11
	v_lshl_add_u64 v[18:19], v[2:3], 2, s[4:5]
	v_add_u32_e32 v4, 1, v2
	v_add_u32_e32 v6, 2, v2
	;; [unrolled: 1-line block ×3, first 2 shown]
	v_mov_b32_e32 v9, v3
	v_add_u32_e32 v10, 4, v2
	v_mov_b32_e32 v11, v3
	v_add_u32_e32 v12, 5, v2
	;; [unrolled: 2-line block ×4, first 2 shown]
	v_mov_b32_e32 v17, v3
	v_lshl_add_u64 v[20:21], v[4:5], 2, s[4:5]
	v_lshl_add_u64 v[22:23], v[6:7], 2, s[4:5]
	;; [unrolled: 1-line block ×7, first 2 shown]
	global_load_dword v30, v[18:19], off
	global_load_dword v29, v[20:21], off
	global_load_dword v28, v[22:23], off
	global_load_dword v27, v[32:33], off
	global_load_dword v26, v[34:35], off
	global_load_dword v25, v[36:37], off
	global_load_dword v24, v[38:39], off
	global_load_dword v1, v[40:41], off
	v_add_u32_e32 v18, 8, v2
	v_mov_b32_e32 v19, v3
	v_lshl_add_u64 v[34:35], v[18:19], 2, s[4:5]
	v_add_u32_e32 v20, 9, v2
	v_mov_b32_e32 v21, v3
	v_add_u32_e32 v22, 10, v2
	v_mov_b32_e32 v23, v3
	v_lshl_add_u64 v[36:37], v[20:21], 2, s[4:5]
	v_lshl_add_u64 v[38:39], v[22:23], 2, s[4:5]
	global_load_dword v33, v[34:35], off
	global_load_dword v32, v[36:37], off
	;; [unrolled: 1-line block ×3, first 2 shown]
	v_lshrrev_b32_e32 v34, 5, v0
	v_add_lshl_u32 v34, v34, v0, 2
	v_cmp_gt_u32_e32 vcc, 64, v0
	v_cmp_eq_u32_e64 s[0:1], 0, v0
	v_cmp_ne_u32_e64 s[2:3], 0, v0
	v_lshlrev_b32_e32 v35, 2, v0
	v_lshrrev_b32_e32 v36, 3, v0
	v_add_u32_e32 v0, -1, v0
	v_add_lshl_u32 v35, v36, v35, 2
	v_lshrrev_b32_e32 v36, 5, v0
	v_add_lshl_u32 v0, v36, v0, 2
	v_mbcnt_lo_u32_b32 v36, -1, 0
	v_mbcnt_hi_u32_b32 v36, -1, v36
	s_movk_i32 s10, 0x64
	v_and_b32_e32 v37, 15, v36
	v_and_b32_e32 v38, 16, v36
	v_add_u32_e32 v39, -1, v36
	v_and_b32_e32 v40, 64, v36
	s_branch .LBB34_2
.LBB34_1:                               ;   in Loop: Header=BB34_2 Depth=1
	s_or_b64 exec, exec, s[4:5]
	s_waitcnt lgkmcnt(0)
	v_add_f32_e32 v41, v30, v41
	v_cndmask_b32_e64 v30, v41, v30, s[0:1]
	v_add_f32_e32 v29, v29, v30
	v_add_f32_e32 v28, v28, v29
	;; [unrolled: 1-line block ×9, first 2 shown]
	s_add_i32 s10, s10, -1
	s_cmp_lg_u32 s10, 0
	v_add_f32_e32 v31, v31, v32
	s_cbranch_scc0 .LBB34_6
.LBB34_2:                               ; =>This Inner Loop Header: Depth=1
	s_waitcnt vmcnt(9)
	v_add_f32_e32 v41, v29, v30
	s_waitcnt vmcnt(8)
	v_add_f32_e32 v41, v28, v41
	;; [unrolled: 2-line block ×10, first 2 shown]
	ds_write_b32 v34, v41
	s_waitcnt lgkmcnt(0)
	s_barrier
	s_and_saveexec_b64 s[8:9], vcc
	s_cbranch_execz .LBB34_4
; %bb.3:                                ;   in Loop: Header=BB34_2 Depth=1
	ds_read2_b32 v[42:43], v35 offset1:1
	ds_read2_b32 v[44:45], v35 offset0:2 offset1:3
	v_cmp_eq_u32_e64 s[4:5], 0, v37
	s_waitcnt lgkmcnt(1)
	v_add_f32_e32 v46, v42, v43
	s_waitcnt lgkmcnt(0)
	v_add_f32_e32 v46, v46, v44
	v_add_f32_e32 v46, v46, v45
	s_nop 1
	v_mov_b32_dpp v47, v46 row_shr:1 row_mask:0xf bank_mask:0xf
	v_add_f32_e32 v47, v46, v47
	v_cndmask_b32_e64 v46, v47, v46, s[4:5]
	v_cmp_lt_u32_e64 s[4:5], 1, v37
	s_nop 0
	v_mov_b32_dpp v47, v46 row_shr:2 row_mask:0xf bank_mask:0xf
	v_add_f32_e32 v47, v46, v47
	v_cndmask_b32_e64 v46, v46, v47, s[4:5]
	v_cmp_lt_u32_e64 s[4:5], 3, v37
	;; [unrolled: 5-line block ×3, first 2 shown]
	s_nop 0
	v_mov_b32_dpp v47, v46 row_shr:8 row_mask:0xf bank_mask:0xf
	v_add_f32_e32 v47, v46, v47
	v_cndmask_b32_e64 v46, v46, v47, s[4:5]
	v_cmp_eq_u32_e64 s[4:5], 0, v38
	s_nop 0
	v_mov_b32_dpp v47, v46 row_bcast:15 row_mask:0xf bank_mask:0xf
	v_add_f32_e32 v47, v46, v47
	v_cndmask_b32_e64 v46, v47, v46, s[4:5]
	v_cmp_lt_u32_e64 s[4:5], 31, v36
	s_nop 0
	v_mov_b32_dpp v47, v46 row_bcast:31 row_mask:0xf bank_mask:0xf
	v_add_f32_e32 v47, v46, v47
	v_cndmask_b32_e64 v46, v46, v47, s[4:5]
	v_cmp_lt_i32_e64 s[4:5], v39, v40
	s_nop 1
	v_cndmask_b32_e64 v47, v39, v36, s[4:5]
	v_lshlrev_b32_e32 v47, 2, v47
	ds_bpermute_b32 v46, v47, v46
	s_waitcnt lgkmcnt(0)
	v_add_f32_e32 v42, v42, v46
	v_cndmask_b32_e64 v42, v42, v41, s[0:1]
	v_add_f32_e32 v43, v43, v42
	ds_write2_b32 v35, v42, v43 offset1:1
	v_add_f32_e32 v42, v44, v43
	v_add_f32_e32 v43, v45, v42
	ds_write2_b32 v35, v42, v43 offset0:2 offset1:3
.LBB34_4:                               ;   in Loop: Header=BB34_2 Depth=1
	s_or_b64 exec, exec, s[8:9]
	s_waitcnt lgkmcnt(0)
	s_barrier
	s_and_saveexec_b64 s[4:5], s[2:3]
	s_cbranch_execz .LBB34_1
; %bb.5:                                ;   in Loop: Header=BB34_2 Depth=1
	ds_read_b32 v41, v0
	s_branch .LBB34_1
.LBB34_6:
	v_lshl_add_u64 v[2:3], v[2:3], 2, s[6:7]
	global_store_dword v[2:3], v30, off
	v_lshl_add_u64 v[2:3], v[4:5], 2, s[6:7]
	global_store_dword v[2:3], v29, off
	;; [unrolled: 2-line block ×11, first 2 shown]
	s_endpgm
	.section	.rodata,"a",@progbits
	.p2align	6, 0x0
	.amdhsa_kernel _Z6kernelI14inclusive_scanILN6hipcub18BlockScanAlgorithmE1EEfLj256ELj11ELj100EEvPKT0_PS4_S4_
		.amdhsa_group_segment_fixed_size 1056
		.amdhsa_private_segment_fixed_size 0
		.amdhsa_kernarg_size 280
		.amdhsa_user_sgpr_count 2
		.amdhsa_user_sgpr_dispatch_ptr 0
		.amdhsa_user_sgpr_queue_ptr 0
		.amdhsa_user_sgpr_kernarg_segment_ptr 1
		.amdhsa_user_sgpr_dispatch_id 0
		.amdhsa_user_sgpr_kernarg_preload_length 0
		.amdhsa_user_sgpr_kernarg_preload_offset 0
		.amdhsa_user_sgpr_private_segment_size 0
		.amdhsa_uses_dynamic_stack 0
		.amdhsa_enable_private_segment 0
		.amdhsa_system_sgpr_workgroup_id_x 1
		.amdhsa_system_sgpr_workgroup_id_y 0
		.amdhsa_system_sgpr_workgroup_id_z 0
		.amdhsa_system_sgpr_workgroup_info 0
		.amdhsa_system_vgpr_workitem_id 0
		.amdhsa_next_free_vgpr 48
		.amdhsa_next_free_sgpr 11
		.amdhsa_accum_offset 48
		.amdhsa_reserve_vcc 1
		.amdhsa_float_round_mode_32 0
		.amdhsa_float_round_mode_16_64 0
		.amdhsa_float_denorm_mode_32 3
		.amdhsa_float_denorm_mode_16_64 3
		.amdhsa_dx10_clamp 1
		.amdhsa_ieee_mode 1
		.amdhsa_fp16_overflow 0
		.amdhsa_tg_split 0
		.amdhsa_exception_fp_ieee_invalid_op 0
		.amdhsa_exception_fp_denorm_src 0
		.amdhsa_exception_fp_ieee_div_zero 0
		.amdhsa_exception_fp_ieee_overflow 0
		.amdhsa_exception_fp_ieee_underflow 0
		.amdhsa_exception_fp_ieee_inexact 0
		.amdhsa_exception_int_div_zero 0
	.end_amdhsa_kernel
	.section	.text._Z6kernelI14inclusive_scanILN6hipcub18BlockScanAlgorithmE1EEfLj256ELj11ELj100EEvPKT0_PS4_S4_,"axG",@progbits,_Z6kernelI14inclusive_scanILN6hipcub18BlockScanAlgorithmE1EEfLj256ELj11ELj100EEvPKT0_PS4_S4_,comdat
.Lfunc_end34:
	.size	_Z6kernelI14inclusive_scanILN6hipcub18BlockScanAlgorithmE1EEfLj256ELj11ELj100EEvPKT0_PS4_S4_, .Lfunc_end34-_Z6kernelI14inclusive_scanILN6hipcub18BlockScanAlgorithmE1EEfLj256ELj11ELj100EEvPKT0_PS4_S4_
                                        ; -- End function
	.section	.AMDGPU.csdata,"",@progbits
; Kernel info:
; codeLenInByte = 1100
; NumSgprs: 17
; NumVgprs: 48
; NumAgprs: 0
; TotalNumVgprs: 48
; ScratchSize: 0
; MemoryBound: 0
; FloatMode: 240
; IeeeMode: 1
; LDSByteSize: 1056 bytes/workgroup (compile time only)
; SGPRBlocks: 2
; VGPRBlocks: 5
; NumSGPRsForWavesPerEU: 17
; NumVGPRsForWavesPerEU: 48
; AccumOffset: 48
; Occupancy: 8
; WaveLimiterHint : 0
; COMPUTE_PGM_RSRC2:SCRATCH_EN: 0
; COMPUTE_PGM_RSRC2:USER_SGPR: 2
; COMPUTE_PGM_RSRC2:TRAP_HANDLER: 0
; COMPUTE_PGM_RSRC2:TGID_X_EN: 1
; COMPUTE_PGM_RSRC2:TGID_Y_EN: 0
; COMPUTE_PGM_RSRC2:TGID_Z_EN: 0
; COMPUTE_PGM_RSRC2:TIDIG_COMP_CNT: 0
; COMPUTE_PGM_RSRC3_GFX90A:ACCUM_OFFSET: 11
; COMPUTE_PGM_RSRC3_GFX90A:TG_SPLIT: 0
	.section	.text._Z6kernelI14inclusive_scanILN6hipcub18BlockScanAlgorithmE1EEfLj256ELj16ELj100EEvPKT0_PS4_S4_,"axG",@progbits,_Z6kernelI14inclusive_scanILN6hipcub18BlockScanAlgorithmE1EEfLj256ELj16ELj100EEvPKT0_PS4_S4_,comdat
	.protected	_Z6kernelI14inclusive_scanILN6hipcub18BlockScanAlgorithmE1EEfLj256ELj16ELj100EEvPKT0_PS4_S4_ ; -- Begin function _Z6kernelI14inclusive_scanILN6hipcub18BlockScanAlgorithmE1EEfLj256ELj16ELj100EEvPKT0_PS4_S4_
	.globl	_Z6kernelI14inclusive_scanILN6hipcub18BlockScanAlgorithmE1EEfLj256ELj16ELj100EEvPKT0_PS4_S4_
	.p2align	8
	.type	_Z6kernelI14inclusive_scanILN6hipcub18BlockScanAlgorithmE1EEfLj256ELj16ELj100EEvPKT0_PS4_S4_,@function
_Z6kernelI14inclusive_scanILN6hipcub18BlockScanAlgorithmE1EEfLj256ELj16ELj100EEvPKT0_PS4_S4_: ; @_Z6kernelI14inclusive_scanILN6hipcub18BlockScanAlgorithmE1EEfLj256ELj16ELj100EEvPKT0_PS4_S4_
; %bb.0:
	s_load_dwordx4 s[4:7], s[0:1], 0x0
	s_load_dword s3, s[0:1], 0x24
	v_mov_b32_e32 v19, 0
	v_lshrrev_b32_e32 v1, 5, v0
	v_add_lshl_u32 v1, v1, v0, 2
	s_waitcnt lgkmcnt(0)
	v_mov_b32_e32 v2, s4
	s_and_b32 s0, s3, 0xffff
	s_mul_i32 s2, s2, s0
	v_mov_b32_e32 v3, s5
	v_add_lshl_u32 v18, s2, v0, 4
	v_lshl_add_u64 v[20:21], v[18:19], 2, v[2:3]
	global_load_dwordx4 v[2:5], v[20:21], off offset:48
	global_load_dwordx4 v[6:9], v[20:21], off offset:32
	global_load_dwordx4 v[14:17], v[20:21], off
	global_load_dwordx4 v[10:13], v[20:21], off offset:16
	v_cmp_gt_u32_e32 vcc, 64, v0
	v_cmp_eq_u32_e64 s[0:1], 0, v0
	v_cmp_ne_u32_e64 s[2:3], 0, v0
	v_lshlrev_b32_e32 v20, 2, v0
	v_lshrrev_b32_e32 v21, 3, v0
	v_add_u32_e32 v0, -1, v0
	v_add_lshl_u32 v20, v21, v20, 2
	v_lshrrev_b32_e32 v21, 5, v0
	v_add_lshl_u32 v0, v21, v0, 2
	v_mbcnt_lo_u32_b32 v21, -1, 0
	v_mbcnt_hi_u32_b32 v21, -1, v21
	s_movk_i32 s10, 0x64
	v_and_b32_e32 v22, 15, v21
	v_and_b32_e32 v23, 16, v21
	v_add_u32_e32 v24, -1, v21
	s_branch .LBB35_2
.LBB35_1:                               ;   in Loop: Header=BB35_2 Depth=1
	s_or_b64 exec, exec, s[4:5]
	s_waitcnt lgkmcnt(0)
	v_add_f32_e32 v25, v14, v25
	v_cndmask_b32_e64 v14, v25, v14, s[0:1]
	v_add_f32_e32 v15, v15, v14
	v_add_f32_e32 v16, v16, v15
	;; [unrolled: 1-line block ×14, first 2 shown]
	s_add_i32 s10, s10, -1
	s_cmp_lg_u32 s10, 0
	v_add_f32_e32 v5, v5, v4
	s_cbranch_scc0 .LBB35_6
.LBB35_2:                               ; =>This Inner Loop Header: Depth=1
	s_waitcnt vmcnt(1)
	v_add_f32_e32 v25, v15, v14
	v_add_f32_e32 v25, v16, v25
	;; [unrolled: 1-line block ×3, first 2 shown]
	s_waitcnt vmcnt(0)
	v_add_f32_e32 v25, v10, v25
	v_add_f32_e32 v25, v11, v25
	;; [unrolled: 1-line block ×12, first 2 shown]
	ds_write_b32 v1, v25
	s_waitcnt lgkmcnt(0)
	s_barrier
	s_and_saveexec_b64 s[8:9], vcc
	s_cbranch_execz .LBB35_4
; %bb.3:                                ;   in Loop: Header=BB35_2 Depth=1
	ds_read2_b32 v[26:27], v20 offset1:1
	ds_read2_b32 v[28:29], v20 offset0:2 offset1:3
	v_cmp_eq_u32_e64 s[4:5], 0, v22
	s_waitcnt lgkmcnt(1)
	v_add_f32_e32 v30, v26, v27
	s_waitcnt lgkmcnt(0)
	v_add_f32_e32 v30, v30, v28
	v_add_f32_e32 v30, v30, v29
	s_nop 1
	v_mov_b32_dpp v31, v30 row_shr:1 row_mask:0xf bank_mask:0xf
	v_add_f32_e32 v31, v30, v31
	v_cndmask_b32_e64 v30, v31, v30, s[4:5]
	v_cmp_lt_u32_e64 s[4:5], 1, v22
	s_nop 0
	v_mov_b32_dpp v31, v30 row_shr:2 row_mask:0xf bank_mask:0xf
	v_add_f32_e32 v31, v30, v31
	v_cndmask_b32_e64 v30, v30, v31, s[4:5]
	v_cmp_lt_u32_e64 s[4:5], 3, v22
	;; [unrolled: 5-line block ×3, first 2 shown]
	s_nop 0
	v_mov_b32_dpp v31, v30 row_shr:8 row_mask:0xf bank_mask:0xf
	v_add_f32_e32 v31, v30, v31
	v_cndmask_b32_e64 v30, v30, v31, s[4:5]
	v_cmp_eq_u32_e64 s[4:5], 0, v23
	s_nop 0
	v_mov_b32_dpp v31, v30 row_bcast:15 row_mask:0xf bank_mask:0xf
	v_add_f32_e32 v31, v30, v31
	v_cndmask_b32_e64 v30, v31, v30, s[4:5]
	v_cmp_lt_u32_e64 s[4:5], 31, v21
	s_nop 0
	v_mov_b32_dpp v31, v30 row_bcast:31 row_mask:0xf bank_mask:0xf
	v_add_f32_e32 v31, v30, v31
	v_cndmask_b32_e64 v30, v30, v31, s[4:5]
	v_and_b32_e32 v31, 64, v21
	v_cmp_lt_i32_e64 s[4:5], v24, v31
	s_nop 1
	v_cndmask_b32_e64 v31, v24, v21, s[4:5]
	v_lshlrev_b32_e32 v31, 2, v31
	ds_bpermute_b32 v30, v31, v30
	s_waitcnt lgkmcnt(0)
	v_add_f32_e32 v26, v26, v30
	v_cndmask_b32_e64 v26, v26, v25, s[0:1]
	v_add_f32_e32 v27, v27, v26
	ds_write2_b32 v20, v26, v27 offset1:1
	v_add_f32_e32 v26, v28, v27
	v_add_f32_e32 v27, v29, v26
	ds_write2_b32 v20, v26, v27 offset0:2 offset1:3
.LBB35_4:                               ;   in Loop: Header=BB35_2 Depth=1
	s_or_b64 exec, exec, s[8:9]
	s_waitcnt lgkmcnt(0)
	s_barrier
	s_and_saveexec_b64 s[4:5], s[2:3]
	s_cbranch_execz .LBB35_1
; %bb.5:                                ;   in Loop: Header=BB35_2 Depth=1
	ds_read_b32 v25, v0
	s_branch .LBB35_1
.LBB35_6:
	v_mov_b32_e32 v0, s6
	v_mov_b32_e32 v1, s7
	v_lshl_add_u64 v[0:1], v[18:19], 2, v[0:1]
	global_store_dwordx4 v[0:1], v[14:17], off
	global_store_dwordx4 v[0:1], v[10:13], off offset:16
	global_store_dwordx4 v[0:1], v[6:9], off offset:32
	;; [unrolled: 1-line block ×3, first 2 shown]
	s_endpgm
	.section	.rodata,"a",@progbits
	.p2align	6, 0x0
	.amdhsa_kernel _Z6kernelI14inclusive_scanILN6hipcub18BlockScanAlgorithmE1EEfLj256ELj16ELj100EEvPKT0_PS4_S4_
		.amdhsa_group_segment_fixed_size 1056
		.amdhsa_private_segment_fixed_size 0
		.amdhsa_kernarg_size 280
		.amdhsa_user_sgpr_count 2
		.amdhsa_user_sgpr_dispatch_ptr 0
		.amdhsa_user_sgpr_queue_ptr 0
		.amdhsa_user_sgpr_kernarg_segment_ptr 1
		.amdhsa_user_sgpr_dispatch_id 0
		.amdhsa_user_sgpr_kernarg_preload_length 0
		.amdhsa_user_sgpr_kernarg_preload_offset 0
		.amdhsa_user_sgpr_private_segment_size 0
		.amdhsa_uses_dynamic_stack 0
		.amdhsa_enable_private_segment 0
		.amdhsa_system_sgpr_workgroup_id_x 1
		.amdhsa_system_sgpr_workgroup_id_y 0
		.amdhsa_system_sgpr_workgroup_id_z 0
		.amdhsa_system_sgpr_workgroup_info 0
		.amdhsa_system_vgpr_workitem_id 0
		.amdhsa_next_free_vgpr 32
		.amdhsa_next_free_sgpr 11
		.amdhsa_accum_offset 32
		.amdhsa_reserve_vcc 1
		.amdhsa_float_round_mode_32 0
		.amdhsa_float_round_mode_16_64 0
		.amdhsa_float_denorm_mode_32 3
		.amdhsa_float_denorm_mode_16_64 3
		.amdhsa_dx10_clamp 1
		.amdhsa_ieee_mode 1
		.amdhsa_fp16_overflow 0
		.amdhsa_tg_split 0
		.amdhsa_exception_fp_ieee_invalid_op 0
		.amdhsa_exception_fp_denorm_src 0
		.amdhsa_exception_fp_ieee_div_zero 0
		.amdhsa_exception_fp_ieee_overflow 0
		.amdhsa_exception_fp_ieee_underflow 0
		.amdhsa_exception_fp_ieee_inexact 0
		.amdhsa_exception_int_div_zero 0
	.end_amdhsa_kernel
	.section	.text._Z6kernelI14inclusive_scanILN6hipcub18BlockScanAlgorithmE1EEfLj256ELj16ELj100EEvPKT0_PS4_S4_,"axG",@progbits,_Z6kernelI14inclusive_scanILN6hipcub18BlockScanAlgorithmE1EEfLj256ELj16ELj100EEvPKT0_PS4_S4_,comdat
.Lfunc_end35:
	.size	_Z6kernelI14inclusive_scanILN6hipcub18BlockScanAlgorithmE1EEfLj256ELj16ELj100EEvPKT0_PS4_S4_, .Lfunc_end35-_Z6kernelI14inclusive_scanILN6hipcub18BlockScanAlgorithmE1EEfLj256ELj16ELj100EEvPKT0_PS4_S4_
                                        ; -- End function
	.section	.AMDGPU.csdata,"",@progbits
; Kernel info:
; codeLenInByte = 768
; NumSgprs: 17
; NumVgprs: 32
; NumAgprs: 0
; TotalNumVgprs: 32
; ScratchSize: 0
; MemoryBound: 0
; FloatMode: 240
; IeeeMode: 1
; LDSByteSize: 1056 bytes/workgroup (compile time only)
; SGPRBlocks: 2
; VGPRBlocks: 3
; NumSGPRsForWavesPerEU: 17
; NumVGPRsForWavesPerEU: 32
; AccumOffset: 32
; Occupancy: 8
; WaveLimiterHint : 0
; COMPUTE_PGM_RSRC2:SCRATCH_EN: 0
; COMPUTE_PGM_RSRC2:USER_SGPR: 2
; COMPUTE_PGM_RSRC2:TRAP_HANDLER: 0
; COMPUTE_PGM_RSRC2:TGID_X_EN: 1
; COMPUTE_PGM_RSRC2:TGID_Y_EN: 0
; COMPUTE_PGM_RSRC2:TGID_Z_EN: 0
; COMPUTE_PGM_RSRC2:TIDIG_COMP_CNT: 0
; COMPUTE_PGM_RSRC3_GFX90A:ACCUM_OFFSET: 7
; COMPUTE_PGM_RSRC3_GFX90A:TG_SPLIT: 0
	.section	.text._Z6kernelI14inclusive_scanILN6hipcub18BlockScanAlgorithmE1EEdLj256ELj1ELj100EEvPKT0_PS4_S4_,"axG",@progbits,_Z6kernelI14inclusive_scanILN6hipcub18BlockScanAlgorithmE1EEdLj256ELj1ELj100EEvPKT0_PS4_S4_,comdat
	.protected	_Z6kernelI14inclusive_scanILN6hipcub18BlockScanAlgorithmE1EEdLj256ELj1ELj100EEvPKT0_PS4_S4_ ; -- Begin function _Z6kernelI14inclusive_scanILN6hipcub18BlockScanAlgorithmE1EEdLj256ELj1ELj100EEvPKT0_PS4_S4_
	.globl	_Z6kernelI14inclusive_scanILN6hipcub18BlockScanAlgorithmE1EEdLj256ELj1ELj100EEvPKT0_PS4_S4_
	.p2align	8
	.type	_Z6kernelI14inclusive_scanILN6hipcub18BlockScanAlgorithmE1EEdLj256ELj1ELj100EEvPKT0_PS4_S4_,@function
_Z6kernelI14inclusive_scanILN6hipcub18BlockScanAlgorithmE1EEdLj256ELj1ELj100EEvPKT0_PS4_S4_: ; @_Z6kernelI14inclusive_scanILN6hipcub18BlockScanAlgorithmE1EEdLj256ELj1ELj100EEvPKT0_PS4_S4_
; %bb.0:
	s_load_dwordx4 s[4:7], s[0:1], 0x0
	s_load_dword s3, s[0:1], 0x24
	v_mov_b32_e32 v3, 0
	v_lshrrev_b32_e32 v1, 5, v0
	v_add_lshl_u32 v1, v1, v0, 3
	s_waitcnt lgkmcnt(0)
	v_mov_b32_e32 v4, s4
	s_and_b32 s0, s3, 0xffff
	s_mul_i32 s2, s2, s0
	v_mov_b32_e32 v5, s5
	v_add_u32_e32 v2, s2, v0
	v_lshl_add_u64 v[4:5], v[2:3], 3, v[4:5]
	global_load_dwordx2 v[4:5], v[4:5], off
	v_cmp_gt_u32_e32 vcc, 64, v0
	v_lshlrev_b32_e32 v6, 2, v0
	v_lshrrev_b32_e32 v7, 3, v0
	v_cmp_eq_u32_e64 s[0:1], 0, v0
	v_mbcnt_lo_u32_b32 v0, -1, 0
	v_mbcnt_hi_u32_b32 v0, -1, v0
	v_add_lshl_u32 v6, v7, v6, 3
	s_movk_i32 s8, 0x64
	v_and_b32_e32 v7, 15, v0
	v_and_b32_e32 v8, 16, v0
	v_add_u32_e32 v9, -1, v0
	v_and_b32_e32 v10, 64, v0
	s_branch .LBB36_2
.LBB36_1:                               ;   in Loop: Header=BB36_2 Depth=1
	s_or_b64 exec, exec, s[4:5]
	s_waitcnt lgkmcnt(0)
	s_barrier
	ds_read_b64 v[4:5], v1
	s_add_i32 s8, s8, -1
	s_cmp_lg_u32 s8, 0
	s_cbranch_scc0 .LBB36_4
.LBB36_2:                               ; =>This Inner Loop Header: Depth=1
	s_waitcnt vmcnt(0) lgkmcnt(0)
	ds_write_b64 v1, v[4:5]
	s_waitcnt lgkmcnt(0)
	s_barrier
	s_and_saveexec_b64 s[4:5], vcc
	s_cbranch_execz .LBB36_1
; %bb.3:                                ;   in Loop: Header=BB36_2 Depth=1
	ds_read2_b64 v[12:15], v6 offset1:1
	ds_read2_b64 v[16:19], v6 offset0:2 offset1:3
	v_cmp_eq_u32_e64 s[2:3], 0, v7
	s_waitcnt lgkmcnt(1)
	v_add_f64 v[20:21], v[12:13], v[14:15]
	s_waitcnt lgkmcnt(0)
	v_add_f64 v[20:21], v[20:21], v[16:17]
	v_add_f64 v[20:21], v[20:21], v[18:19]
	s_nop 1
	v_mov_b32_dpp v22, v20 row_shr:1 row_mask:0xf bank_mask:0xf
	v_mov_b32_dpp v23, v21 row_shr:1 row_mask:0xf bank_mask:0xf
	v_add_f64 v[22:23], v[20:21], v[22:23]
	v_cndmask_b32_e64 v21, v23, v21, s[2:3]
	v_cndmask_b32_e64 v20, v22, v20, s[2:3]
	v_cmp_lt_u32_e64 s[2:3], 1, v7
	v_mov_b32_dpp v23, v21 row_shr:2 row_mask:0xf bank_mask:0xf
	v_mov_b32_dpp v22, v20 row_shr:2 row_mask:0xf bank_mask:0xf
	v_add_f64 v[22:23], v[20:21], v[22:23]
	v_cndmask_b32_e64 v20, v20, v22, s[2:3]
	v_cndmask_b32_e64 v21, v21, v23, s[2:3]
	v_cmp_lt_u32_e64 s[2:3], 3, v7
	;; [unrolled: 6-line block ×3, first 2 shown]
	v_mov_b32_dpp v22, v20 row_shr:8 row_mask:0xf bank_mask:0xf
	v_mov_b32_dpp v23, v21 row_shr:8 row_mask:0xf bank_mask:0xf
	v_add_f64 v[22:23], v[20:21], v[22:23]
	v_cndmask_b32_e64 v20, v20, v22, s[2:3]
	v_cndmask_b32_e64 v21, v21, v23, s[2:3]
	v_cmp_eq_u32_e64 s[2:3], 0, v8
	v_mov_b32_dpp v22, v20 row_bcast:15 row_mask:0xf bank_mask:0xf
	v_mov_b32_dpp v23, v21 row_bcast:15 row_mask:0xf bank_mask:0xf
	v_add_f64 v[22:23], v[20:21], v[22:23]
	v_cndmask_b32_e64 v21, v23, v21, s[2:3]
	v_cndmask_b32_e64 v20, v22, v20, s[2:3]
	v_cmp_lt_u32_e64 s[2:3], 31, v0
	v_mov_b32_dpp v23, v21 row_bcast:31 row_mask:0xf bank_mask:0xf
	v_mov_b32_dpp v22, v20 row_bcast:31 row_mask:0xf bank_mask:0xf
	v_add_f64 v[22:23], v[20:21], v[22:23]
	v_cndmask_b32_e64 v11, v21, v23, s[2:3]
	v_cndmask_b32_e64 v20, v20, v22, s[2:3]
	v_cmp_lt_i32_e64 s[2:3], v9, v10
	s_nop 1
	v_cndmask_b32_e64 v21, v9, v0, s[2:3]
	v_lshlrev_b32_e32 v21, 2, v21
	ds_bpermute_b32 v20, v21, v20
	ds_bpermute_b32 v21, v21, v11
	s_waitcnt lgkmcnt(0)
	v_add_f64 v[12:13], v[12:13], v[20:21]
	v_cndmask_b32_e64 v5, v13, v5, s[0:1]
	v_cndmask_b32_e64 v4, v12, v4, s[0:1]
	v_add_f64 v[12:13], v[14:15], v[4:5]
	ds_write2_b64 v6, v[4:5], v[12:13] offset1:1
	v_add_f64 v[4:5], v[16:17], v[12:13]
	v_add_f64 v[12:13], v[18:19], v[4:5]
	ds_write2_b64 v6, v[4:5], v[12:13] offset0:2 offset1:3
	s_branch .LBB36_1
.LBB36_4:
	v_mov_b32_e32 v0, s6
	v_mov_b32_e32 v1, s7
	v_lshl_add_u64 v[0:1], v[2:3], 3, v[0:1]
	s_waitcnt lgkmcnt(0)
	global_store_dwordx2 v[0:1], v[4:5], off
	s_endpgm
	.section	.rodata,"a",@progbits
	.p2align	6, 0x0
	.amdhsa_kernel _Z6kernelI14inclusive_scanILN6hipcub18BlockScanAlgorithmE1EEdLj256ELj1ELj100EEvPKT0_PS4_S4_
		.amdhsa_group_segment_fixed_size 2112
		.amdhsa_private_segment_fixed_size 0
		.amdhsa_kernarg_size 280
		.amdhsa_user_sgpr_count 2
		.amdhsa_user_sgpr_dispatch_ptr 0
		.amdhsa_user_sgpr_queue_ptr 0
		.amdhsa_user_sgpr_kernarg_segment_ptr 1
		.amdhsa_user_sgpr_dispatch_id 0
		.amdhsa_user_sgpr_kernarg_preload_length 0
		.amdhsa_user_sgpr_kernarg_preload_offset 0
		.amdhsa_user_sgpr_private_segment_size 0
		.amdhsa_uses_dynamic_stack 0
		.amdhsa_enable_private_segment 0
		.amdhsa_system_sgpr_workgroup_id_x 1
		.amdhsa_system_sgpr_workgroup_id_y 0
		.amdhsa_system_sgpr_workgroup_id_z 0
		.amdhsa_system_sgpr_workgroup_info 0
		.amdhsa_system_vgpr_workitem_id 0
		.amdhsa_next_free_vgpr 24
		.amdhsa_next_free_sgpr 9
		.amdhsa_accum_offset 24
		.amdhsa_reserve_vcc 1
		.amdhsa_float_round_mode_32 0
		.amdhsa_float_round_mode_16_64 0
		.amdhsa_float_denorm_mode_32 3
		.amdhsa_float_denorm_mode_16_64 3
		.amdhsa_dx10_clamp 1
		.amdhsa_ieee_mode 1
		.amdhsa_fp16_overflow 0
		.amdhsa_tg_split 0
		.amdhsa_exception_fp_ieee_invalid_op 0
		.amdhsa_exception_fp_denorm_src 0
		.amdhsa_exception_fp_ieee_div_zero 0
		.amdhsa_exception_fp_ieee_overflow 0
		.amdhsa_exception_fp_ieee_underflow 0
		.amdhsa_exception_fp_ieee_inexact 0
		.amdhsa_exception_int_div_zero 0
	.end_amdhsa_kernel
	.section	.text._Z6kernelI14inclusive_scanILN6hipcub18BlockScanAlgorithmE1EEdLj256ELj1ELj100EEvPKT0_PS4_S4_,"axG",@progbits,_Z6kernelI14inclusive_scanILN6hipcub18BlockScanAlgorithmE1EEdLj256ELj1ELj100EEvPKT0_PS4_S4_,comdat
.Lfunc_end36:
	.size	_Z6kernelI14inclusive_scanILN6hipcub18BlockScanAlgorithmE1EEdLj256ELj1ELj100EEvPKT0_PS4_S4_, .Lfunc_end36-_Z6kernelI14inclusive_scanILN6hipcub18BlockScanAlgorithmE1EEdLj256ELj1ELj100EEvPKT0_PS4_S4_
                                        ; -- End function
	.section	.AMDGPU.csdata,"",@progbits
; Kernel info:
; codeLenInByte = 688
; NumSgprs: 15
; NumVgprs: 24
; NumAgprs: 0
; TotalNumVgprs: 24
; ScratchSize: 0
; MemoryBound: 0
; FloatMode: 240
; IeeeMode: 1
; LDSByteSize: 2112 bytes/workgroup (compile time only)
; SGPRBlocks: 1
; VGPRBlocks: 2
; NumSGPRsForWavesPerEU: 15
; NumVGPRsForWavesPerEU: 24
; AccumOffset: 24
; Occupancy: 8
; WaveLimiterHint : 0
; COMPUTE_PGM_RSRC2:SCRATCH_EN: 0
; COMPUTE_PGM_RSRC2:USER_SGPR: 2
; COMPUTE_PGM_RSRC2:TRAP_HANDLER: 0
; COMPUTE_PGM_RSRC2:TGID_X_EN: 1
; COMPUTE_PGM_RSRC2:TGID_Y_EN: 0
; COMPUTE_PGM_RSRC2:TGID_Z_EN: 0
; COMPUTE_PGM_RSRC2:TIDIG_COMP_CNT: 0
; COMPUTE_PGM_RSRC3_GFX90A:ACCUM_OFFSET: 5
; COMPUTE_PGM_RSRC3_GFX90A:TG_SPLIT: 0
	.section	.text._Z6kernelI14inclusive_scanILN6hipcub18BlockScanAlgorithmE1EEdLj256ELj3ELj100EEvPKT0_PS4_S4_,"axG",@progbits,_Z6kernelI14inclusive_scanILN6hipcub18BlockScanAlgorithmE1EEdLj256ELj3ELj100EEvPKT0_PS4_S4_,comdat
	.protected	_Z6kernelI14inclusive_scanILN6hipcub18BlockScanAlgorithmE1EEdLj256ELj3ELj100EEvPKT0_PS4_S4_ ; -- Begin function _Z6kernelI14inclusive_scanILN6hipcub18BlockScanAlgorithmE1EEdLj256ELj3ELj100EEvPKT0_PS4_S4_
	.globl	_Z6kernelI14inclusive_scanILN6hipcub18BlockScanAlgorithmE1EEdLj256ELj3ELj100EEvPKT0_PS4_S4_
	.p2align	8
	.type	_Z6kernelI14inclusive_scanILN6hipcub18BlockScanAlgorithmE1EEdLj256ELj3ELj100EEvPKT0_PS4_S4_,@function
_Z6kernelI14inclusive_scanILN6hipcub18BlockScanAlgorithmE1EEdLj256ELj3ELj100EEvPKT0_PS4_S4_: ; @_Z6kernelI14inclusive_scanILN6hipcub18BlockScanAlgorithmE1EEdLj256ELj3ELj100EEvPKT0_PS4_S4_
; %bb.0:
	s_load_dword s3, s[0:1], 0x24
	s_load_dwordx4 s[4:7], s[0:1], 0x0
	v_mov_b32_e32 v3, 0
	v_mov_b32_e32 v5, v3
	;; [unrolled: 1-line block ×3, first 2 shown]
	s_waitcnt lgkmcnt(0)
	s_and_b32 s0, s3, 0xffff
	s_mul_i32 s2, s2, s0
	v_add_u32_e32 v1, s2, v0
	v_lshl_add_u32 v2, v1, 1, v1
	v_lshl_add_u64 v[14:15], v[2:3], 3, s[4:5]
	v_add_u32_e32 v4, 1, v2
	v_add_u32_e32 v6, 2, v2
	v_lshl_add_u64 v[16:17], v[4:5], 3, s[4:5]
	v_lshl_add_u64 v[18:19], v[6:7], 3, s[4:5]
	global_load_dwordx2 v[12:13], v[14:15], off
	global_load_dwordx2 v[10:11], v[16:17], off
	;; [unrolled: 1-line block ×3, first 2 shown]
	v_lshrrev_b32_e32 v1, 5, v0
	v_add_lshl_u32 v14, v1, v0, 3
	v_cmp_gt_u32_e32 vcc, 64, v0
	v_cmp_eq_u32_e64 s[0:1], 0, v0
	v_cmp_ne_u32_e64 s[2:3], 0, v0
	v_lshlrev_b32_e32 v1, 2, v0
	v_lshrrev_b32_e32 v15, 3, v0
	v_add_u32_e32 v0, -1, v0
	v_add_lshl_u32 v15, v15, v1, 3
	v_lshrrev_b32_e32 v1, 5, v0
	v_add_lshl_u32 v16, v1, v0, 3
	v_mbcnt_lo_u32_b32 v0, -1, 0
	v_mbcnt_hi_u32_b32 v17, -1, v0
	s_movk_i32 s10, 0x64
	v_and_b32_e32 v18, 15, v17
	v_and_b32_e32 v19, 16, v17
	v_add_u32_e32 v20, -1, v17
	v_and_b32_e32 v21, 64, v17
	s_branch .LBB37_2
.LBB37_1:                               ;   in Loop: Header=BB37_2 Depth=1
	s_or_b64 exec, exec, s[4:5]
	s_waitcnt lgkmcnt(0)
	v_add_f64 v[0:1], v[12:13], v[0:1]
	v_cndmask_b32_e64 v13, v1, v13, s[0:1]
	v_cndmask_b32_e64 v12, v0, v12, s[0:1]
	v_add_f64 v[10:11], v[10:11], v[12:13]
	s_add_i32 s10, s10, -1
	s_cmp_lg_u32 s10, 0
	v_add_f64 v[8:9], v[8:9], v[10:11]
	s_cbranch_scc0 .LBB37_6
.LBB37_2:                               ; =>This Inner Loop Header: Depth=1
	s_waitcnt vmcnt(1)
	v_add_f64 v[0:1], v[12:13], v[10:11]
	s_waitcnt vmcnt(0)
	v_add_f64 v[0:1], v[8:9], v[0:1]
	ds_write_b64 v14, v[0:1]
	s_waitcnt lgkmcnt(0)
	s_barrier
	s_and_saveexec_b64 s[8:9], vcc
	s_cbranch_execz .LBB37_4
; %bb.3:                                ;   in Loop: Header=BB37_2 Depth=1
	ds_read2_b64 v[22:25], v15 offset1:1
	ds_read2_b64 v[26:29], v15 offset0:2 offset1:3
	v_cmp_eq_u32_e64 s[4:5], 0, v18
	s_waitcnt lgkmcnt(1)
	v_add_f64 v[30:31], v[22:23], v[24:25]
	s_waitcnt lgkmcnt(0)
	v_add_f64 v[30:31], v[30:31], v[26:27]
	v_add_f64 v[30:31], v[30:31], v[28:29]
	s_nop 1
	v_mov_b32_dpp v32, v30 row_shr:1 row_mask:0xf bank_mask:0xf
	v_mov_b32_dpp v33, v31 row_shr:1 row_mask:0xf bank_mask:0xf
	v_add_f64 v[32:33], v[30:31], v[32:33]
	v_cndmask_b32_e64 v31, v33, v31, s[4:5]
	v_cndmask_b32_e64 v30, v32, v30, s[4:5]
	v_cmp_lt_u32_e64 s[4:5], 1, v18
	v_mov_b32_dpp v33, v31 row_shr:2 row_mask:0xf bank_mask:0xf
	v_mov_b32_dpp v32, v30 row_shr:2 row_mask:0xf bank_mask:0xf
	v_add_f64 v[32:33], v[30:31], v[32:33]
	v_cndmask_b32_e64 v30, v30, v32, s[4:5]
	v_cndmask_b32_e64 v31, v31, v33, s[4:5]
	v_cmp_lt_u32_e64 s[4:5], 3, v18
	;; [unrolled: 6-line block ×3, first 2 shown]
	v_mov_b32_dpp v32, v30 row_shr:8 row_mask:0xf bank_mask:0xf
	v_mov_b32_dpp v33, v31 row_shr:8 row_mask:0xf bank_mask:0xf
	v_add_f64 v[32:33], v[30:31], v[32:33]
	v_cndmask_b32_e64 v30, v30, v32, s[4:5]
	v_cndmask_b32_e64 v31, v31, v33, s[4:5]
	v_cmp_eq_u32_e64 s[4:5], 0, v19
	v_mov_b32_dpp v32, v30 row_bcast:15 row_mask:0xf bank_mask:0xf
	v_mov_b32_dpp v33, v31 row_bcast:15 row_mask:0xf bank_mask:0xf
	v_add_f64 v[32:33], v[30:31], v[32:33]
	v_cndmask_b32_e64 v31, v33, v31, s[4:5]
	v_cndmask_b32_e64 v30, v32, v30, s[4:5]
	v_cmp_lt_u32_e64 s[4:5], 31, v17
	v_mov_b32_dpp v33, v31 row_bcast:31 row_mask:0xf bank_mask:0xf
	v_mov_b32_dpp v32, v30 row_bcast:31 row_mask:0xf bank_mask:0xf
	v_add_f64 v[32:33], v[30:31], v[32:33]
	v_cndmask_b32_e64 v31, v31, v33, s[4:5]
	v_cndmask_b32_e64 v30, v30, v32, s[4:5]
	v_cmp_lt_i32_e64 s[4:5], v20, v21
	s_nop 1
	v_cndmask_b32_e64 v32, v20, v17, s[4:5]
	v_lshlrev_b32_e32 v32, 2, v32
	ds_bpermute_b32 v30, v32, v30
	ds_bpermute_b32 v31, v32, v31
	s_waitcnt lgkmcnt(0)
	v_add_f64 v[22:23], v[22:23], v[30:31]
	v_cndmask_b32_e64 v23, v23, v1, s[0:1]
	v_cndmask_b32_e64 v22, v22, v0, s[0:1]
	v_add_f64 v[24:25], v[24:25], v[22:23]
	ds_write2_b64 v15, v[22:23], v[24:25] offset1:1
	v_add_f64 v[22:23], v[26:27], v[24:25]
	v_add_f64 v[24:25], v[28:29], v[22:23]
	ds_write2_b64 v15, v[22:23], v[24:25] offset0:2 offset1:3
.LBB37_4:                               ;   in Loop: Header=BB37_2 Depth=1
	s_or_b64 exec, exec, s[8:9]
	s_waitcnt lgkmcnt(0)
	s_barrier
	s_and_saveexec_b64 s[4:5], s[2:3]
	s_cbranch_execz .LBB37_1
; %bb.5:                                ;   in Loop: Header=BB37_2 Depth=1
	ds_read_b64 v[0:1], v16
	s_branch .LBB37_1
.LBB37_6:
	v_lshl_add_u64 v[0:1], v[2:3], 3, s[6:7]
	global_store_dwordx2 v[0:1], v[12:13], off
	v_lshl_add_u64 v[0:1], v[4:5], 3, s[6:7]
	global_store_dwordx2 v[0:1], v[10:11], off
	;; [unrolled: 2-line block ×3, first 2 shown]
	s_endpgm
	.section	.rodata,"a",@progbits
	.p2align	6, 0x0
	.amdhsa_kernel _Z6kernelI14inclusive_scanILN6hipcub18BlockScanAlgorithmE1EEdLj256ELj3ELj100EEvPKT0_PS4_S4_
		.amdhsa_group_segment_fixed_size 2112
		.amdhsa_private_segment_fixed_size 0
		.amdhsa_kernarg_size 280
		.amdhsa_user_sgpr_count 2
		.amdhsa_user_sgpr_dispatch_ptr 0
		.amdhsa_user_sgpr_queue_ptr 0
		.amdhsa_user_sgpr_kernarg_segment_ptr 1
		.amdhsa_user_sgpr_dispatch_id 0
		.amdhsa_user_sgpr_kernarg_preload_length 0
		.amdhsa_user_sgpr_kernarg_preload_offset 0
		.amdhsa_user_sgpr_private_segment_size 0
		.amdhsa_uses_dynamic_stack 0
		.amdhsa_enable_private_segment 0
		.amdhsa_system_sgpr_workgroup_id_x 1
		.amdhsa_system_sgpr_workgroup_id_y 0
		.amdhsa_system_sgpr_workgroup_id_z 0
		.amdhsa_system_sgpr_workgroup_info 0
		.amdhsa_system_vgpr_workitem_id 0
		.amdhsa_next_free_vgpr 34
		.amdhsa_next_free_sgpr 11
		.amdhsa_accum_offset 36
		.amdhsa_reserve_vcc 1
		.amdhsa_float_round_mode_32 0
		.amdhsa_float_round_mode_16_64 0
		.amdhsa_float_denorm_mode_32 3
		.amdhsa_float_denorm_mode_16_64 3
		.amdhsa_dx10_clamp 1
		.amdhsa_ieee_mode 1
		.amdhsa_fp16_overflow 0
		.amdhsa_tg_split 0
		.amdhsa_exception_fp_ieee_invalid_op 0
		.amdhsa_exception_fp_denorm_src 0
		.amdhsa_exception_fp_ieee_div_zero 0
		.amdhsa_exception_fp_ieee_overflow 0
		.amdhsa_exception_fp_ieee_underflow 0
		.amdhsa_exception_fp_ieee_inexact 0
		.amdhsa_exception_int_div_zero 0
	.end_amdhsa_kernel
	.section	.text._Z6kernelI14inclusive_scanILN6hipcub18BlockScanAlgorithmE1EEdLj256ELj3ELj100EEvPKT0_PS4_S4_,"axG",@progbits,_Z6kernelI14inclusive_scanILN6hipcub18BlockScanAlgorithmE1EEdLj256ELj3ELj100EEvPKT0_PS4_S4_,comdat
.Lfunc_end37:
	.size	_Z6kernelI14inclusive_scanILN6hipcub18BlockScanAlgorithmE1EEdLj256ELj3ELj100EEvPKT0_PS4_S4_, .Lfunc_end37-_Z6kernelI14inclusive_scanILN6hipcub18BlockScanAlgorithmE1EEdLj256ELj3ELj100EEvPKT0_PS4_S4_
                                        ; -- End function
	.section	.AMDGPU.csdata,"",@progbits
; Kernel info:
; codeLenInByte = 856
; NumSgprs: 17
; NumVgprs: 34
; NumAgprs: 0
; TotalNumVgprs: 34
; ScratchSize: 0
; MemoryBound: 0
; FloatMode: 240
; IeeeMode: 1
; LDSByteSize: 2112 bytes/workgroup (compile time only)
; SGPRBlocks: 2
; VGPRBlocks: 4
; NumSGPRsForWavesPerEU: 17
; NumVGPRsForWavesPerEU: 34
; AccumOffset: 36
; Occupancy: 8
; WaveLimiterHint : 0
; COMPUTE_PGM_RSRC2:SCRATCH_EN: 0
; COMPUTE_PGM_RSRC2:USER_SGPR: 2
; COMPUTE_PGM_RSRC2:TRAP_HANDLER: 0
; COMPUTE_PGM_RSRC2:TGID_X_EN: 1
; COMPUTE_PGM_RSRC2:TGID_Y_EN: 0
; COMPUTE_PGM_RSRC2:TGID_Z_EN: 0
; COMPUTE_PGM_RSRC2:TIDIG_COMP_CNT: 0
; COMPUTE_PGM_RSRC3_GFX90A:ACCUM_OFFSET: 8
; COMPUTE_PGM_RSRC3_GFX90A:TG_SPLIT: 0
	.section	.text._Z6kernelI14inclusive_scanILN6hipcub18BlockScanAlgorithmE1EEdLj256ELj4ELj100EEvPKT0_PS4_S4_,"axG",@progbits,_Z6kernelI14inclusive_scanILN6hipcub18BlockScanAlgorithmE1EEdLj256ELj4ELj100EEvPKT0_PS4_S4_,comdat
	.protected	_Z6kernelI14inclusive_scanILN6hipcub18BlockScanAlgorithmE1EEdLj256ELj4ELj100EEvPKT0_PS4_S4_ ; -- Begin function _Z6kernelI14inclusive_scanILN6hipcub18BlockScanAlgorithmE1EEdLj256ELj4ELj100EEvPKT0_PS4_S4_
	.globl	_Z6kernelI14inclusive_scanILN6hipcub18BlockScanAlgorithmE1EEdLj256ELj4ELj100EEvPKT0_PS4_S4_
	.p2align	8
	.type	_Z6kernelI14inclusive_scanILN6hipcub18BlockScanAlgorithmE1EEdLj256ELj4ELj100EEvPKT0_PS4_S4_,@function
_Z6kernelI14inclusive_scanILN6hipcub18BlockScanAlgorithmE1EEdLj256ELj4ELj100EEvPKT0_PS4_S4_: ; @_Z6kernelI14inclusive_scanILN6hipcub18BlockScanAlgorithmE1EEdLj256ELj4ELj100EEvPKT0_PS4_S4_
; %bb.0:
	s_load_dwordx4 s[4:7], s[0:1], 0x0
	s_load_dword s3, s[0:1], 0x24
	v_mov_b32_e32 v11, 0
	v_lshrrev_b32_e32 v1, 5, v0
	v_cmp_gt_u32_e32 vcc, 64, v0
	s_waitcnt lgkmcnt(0)
	v_mov_b32_e32 v2, s4
	s_and_b32 s0, s3, 0xffff
	s_mul_i32 s2, s2, s0
	v_mov_b32_e32 v3, s5
	v_add_lshl_u32 v10, s2, v0, 2
	v_lshl_add_u64 v[12:13], v[10:11], 3, v[2:3]
	global_load_dwordx4 v[2:5], v[12:13], off offset:16
	global_load_dwordx4 v[6:9], v[12:13], off
	v_add_lshl_u32 v12, v1, v0, 3
	v_cmp_eq_u32_e64 s[0:1], 0, v0
	v_cmp_ne_u32_e64 s[2:3], 0, v0
	v_lshlrev_b32_e32 v1, 2, v0
	v_lshrrev_b32_e32 v13, 3, v0
	v_add_u32_e32 v0, -1, v0
	v_add_lshl_u32 v13, v13, v1, 3
	v_lshrrev_b32_e32 v1, 5, v0
	v_add_lshl_u32 v14, v1, v0, 3
	v_mbcnt_lo_u32_b32 v0, -1, 0
	v_mbcnt_hi_u32_b32 v15, -1, v0
	s_movk_i32 s10, 0x64
	v_and_b32_e32 v16, 15, v15
	v_and_b32_e32 v17, 16, v15
	v_add_u32_e32 v18, -1, v15
	v_and_b32_e32 v19, 64, v15
	s_branch .LBB38_2
.LBB38_1:                               ;   in Loop: Header=BB38_2 Depth=1
	s_or_b64 exec, exec, s[4:5]
	s_waitcnt lgkmcnt(0)
	v_add_f64 v[0:1], v[6:7], v[0:1]
	v_cndmask_b32_e64 v7, v1, v7, s[0:1]
	v_cndmask_b32_e64 v6, v0, v6, s[0:1]
	v_add_f64 v[8:9], v[8:9], v[6:7]
	v_add_f64 v[2:3], v[2:3], v[8:9]
	s_add_i32 s10, s10, -1
	s_cmp_lg_u32 s10, 0
	v_add_f64 v[4:5], v[4:5], v[2:3]
	s_cbranch_scc0 .LBB38_6
.LBB38_2:                               ; =>This Inner Loop Header: Depth=1
	s_waitcnt vmcnt(0)
	v_add_f64 v[0:1], v[6:7], v[8:9]
	v_add_f64 v[0:1], v[2:3], v[0:1]
	;; [unrolled: 1-line block ×3, first 2 shown]
	ds_write_b64 v12, v[0:1]
	s_waitcnt lgkmcnt(0)
	s_barrier
	s_and_saveexec_b64 s[8:9], vcc
	s_cbranch_execz .LBB38_4
; %bb.3:                                ;   in Loop: Header=BB38_2 Depth=1
	ds_read2_b64 v[20:23], v13 offset1:1
	ds_read2_b64 v[24:27], v13 offset0:2 offset1:3
	v_cmp_eq_u32_e64 s[4:5], 0, v16
	s_waitcnt lgkmcnt(1)
	v_add_f64 v[28:29], v[20:21], v[22:23]
	s_waitcnt lgkmcnt(0)
	v_add_f64 v[28:29], v[28:29], v[24:25]
	v_add_f64 v[28:29], v[28:29], v[26:27]
	s_nop 1
	v_mov_b32_dpp v30, v28 row_shr:1 row_mask:0xf bank_mask:0xf
	v_mov_b32_dpp v31, v29 row_shr:1 row_mask:0xf bank_mask:0xf
	v_add_f64 v[30:31], v[28:29], v[30:31]
	v_cndmask_b32_e64 v29, v31, v29, s[4:5]
	v_cndmask_b32_e64 v28, v30, v28, s[4:5]
	v_cmp_lt_u32_e64 s[4:5], 1, v16
	v_mov_b32_dpp v31, v29 row_shr:2 row_mask:0xf bank_mask:0xf
	v_mov_b32_dpp v30, v28 row_shr:2 row_mask:0xf bank_mask:0xf
	v_add_f64 v[30:31], v[28:29], v[30:31]
	v_cndmask_b32_e64 v28, v28, v30, s[4:5]
	v_cndmask_b32_e64 v29, v29, v31, s[4:5]
	v_cmp_lt_u32_e64 s[4:5], 3, v16
	;; [unrolled: 6-line block ×3, first 2 shown]
	v_mov_b32_dpp v30, v28 row_shr:8 row_mask:0xf bank_mask:0xf
	v_mov_b32_dpp v31, v29 row_shr:8 row_mask:0xf bank_mask:0xf
	v_add_f64 v[30:31], v[28:29], v[30:31]
	v_cndmask_b32_e64 v28, v28, v30, s[4:5]
	v_cndmask_b32_e64 v29, v29, v31, s[4:5]
	v_cmp_eq_u32_e64 s[4:5], 0, v17
	v_mov_b32_dpp v30, v28 row_bcast:15 row_mask:0xf bank_mask:0xf
	v_mov_b32_dpp v31, v29 row_bcast:15 row_mask:0xf bank_mask:0xf
	v_add_f64 v[30:31], v[28:29], v[30:31]
	v_cndmask_b32_e64 v29, v31, v29, s[4:5]
	v_cndmask_b32_e64 v28, v30, v28, s[4:5]
	v_cmp_lt_u32_e64 s[4:5], 31, v15
	v_mov_b32_dpp v31, v29 row_bcast:31 row_mask:0xf bank_mask:0xf
	v_mov_b32_dpp v30, v28 row_bcast:31 row_mask:0xf bank_mask:0xf
	v_add_f64 v[30:31], v[28:29], v[30:31]
	v_cndmask_b32_e64 v29, v29, v31, s[4:5]
	v_cndmask_b32_e64 v28, v28, v30, s[4:5]
	v_cmp_lt_i32_e64 s[4:5], v18, v19
	s_nop 1
	v_cndmask_b32_e64 v30, v18, v15, s[4:5]
	v_lshlrev_b32_e32 v30, 2, v30
	ds_bpermute_b32 v28, v30, v28
	ds_bpermute_b32 v29, v30, v29
	s_waitcnt lgkmcnt(0)
	v_add_f64 v[20:21], v[20:21], v[28:29]
	v_cndmask_b32_e64 v21, v21, v1, s[0:1]
	v_cndmask_b32_e64 v20, v20, v0, s[0:1]
	v_add_f64 v[22:23], v[22:23], v[20:21]
	ds_write2_b64 v13, v[20:21], v[22:23] offset1:1
	v_add_f64 v[20:21], v[24:25], v[22:23]
	v_add_f64 v[22:23], v[26:27], v[20:21]
	ds_write2_b64 v13, v[20:21], v[22:23] offset0:2 offset1:3
.LBB38_4:                               ;   in Loop: Header=BB38_2 Depth=1
	s_or_b64 exec, exec, s[8:9]
	s_waitcnt lgkmcnt(0)
	s_barrier
	s_and_saveexec_b64 s[4:5], s[2:3]
	s_cbranch_execz .LBB38_1
; %bb.5:                                ;   in Loop: Header=BB38_2 Depth=1
	ds_read_b64 v[0:1], v14
	s_branch .LBB38_1
.LBB38_6:
	v_mov_b32_e32 v0, s6
	v_mov_b32_e32 v1, s7
	v_lshl_add_u64 v[0:1], v[10:11], 3, v[0:1]
	global_store_dwordx4 v[0:1], v[6:9], off
	global_store_dwordx4 v[0:1], v[2:5], off offset:16
	s_endpgm
	.section	.rodata,"a",@progbits
	.p2align	6, 0x0
	.amdhsa_kernel _Z6kernelI14inclusive_scanILN6hipcub18BlockScanAlgorithmE1EEdLj256ELj4ELj100EEvPKT0_PS4_S4_
		.amdhsa_group_segment_fixed_size 2112
		.amdhsa_private_segment_fixed_size 0
		.amdhsa_kernarg_size 280
		.amdhsa_user_sgpr_count 2
		.amdhsa_user_sgpr_dispatch_ptr 0
		.amdhsa_user_sgpr_queue_ptr 0
		.amdhsa_user_sgpr_kernarg_segment_ptr 1
		.amdhsa_user_sgpr_dispatch_id 0
		.amdhsa_user_sgpr_kernarg_preload_length 0
		.amdhsa_user_sgpr_kernarg_preload_offset 0
		.amdhsa_user_sgpr_private_segment_size 0
		.amdhsa_uses_dynamic_stack 0
		.amdhsa_enable_private_segment 0
		.amdhsa_system_sgpr_workgroup_id_x 1
		.amdhsa_system_sgpr_workgroup_id_y 0
		.amdhsa_system_sgpr_workgroup_id_z 0
		.amdhsa_system_sgpr_workgroup_info 0
		.amdhsa_system_vgpr_workitem_id 0
		.amdhsa_next_free_vgpr 32
		.amdhsa_next_free_sgpr 11
		.amdhsa_accum_offset 32
		.amdhsa_reserve_vcc 1
		.amdhsa_float_round_mode_32 0
		.amdhsa_float_round_mode_16_64 0
		.amdhsa_float_denorm_mode_32 3
		.amdhsa_float_denorm_mode_16_64 3
		.amdhsa_dx10_clamp 1
		.amdhsa_ieee_mode 1
		.amdhsa_fp16_overflow 0
		.amdhsa_tg_split 0
		.amdhsa_exception_fp_ieee_invalid_op 0
		.amdhsa_exception_fp_denorm_src 0
		.amdhsa_exception_fp_ieee_div_zero 0
		.amdhsa_exception_fp_ieee_overflow 0
		.amdhsa_exception_fp_ieee_underflow 0
		.amdhsa_exception_fp_ieee_inexact 0
		.amdhsa_exception_int_div_zero 0
	.end_amdhsa_kernel
	.section	.text._Z6kernelI14inclusive_scanILN6hipcub18BlockScanAlgorithmE1EEdLj256ELj4ELj100EEvPKT0_PS4_S4_,"axG",@progbits,_Z6kernelI14inclusive_scanILN6hipcub18BlockScanAlgorithmE1EEdLj256ELj4ELj100EEvPKT0_PS4_S4_,comdat
.Lfunc_end38:
	.size	_Z6kernelI14inclusive_scanILN6hipcub18BlockScanAlgorithmE1EEdLj256ELj4ELj100EEvPKT0_PS4_S4_, .Lfunc_end38-_Z6kernelI14inclusive_scanILN6hipcub18BlockScanAlgorithmE1EEdLj256ELj4ELj100EEvPKT0_PS4_S4_
                                        ; -- End function
	.section	.AMDGPU.csdata,"",@progbits
; Kernel info:
; codeLenInByte = 816
; NumSgprs: 17
; NumVgprs: 32
; NumAgprs: 0
; TotalNumVgprs: 32
; ScratchSize: 0
; MemoryBound: 0
; FloatMode: 240
; IeeeMode: 1
; LDSByteSize: 2112 bytes/workgroup (compile time only)
; SGPRBlocks: 2
; VGPRBlocks: 3
; NumSGPRsForWavesPerEU: 17
; NumVGPRsForWavesPerEU: 32
; AccumOffset: 32
; Occupancy: 8
; WaveLimiterHint : 0
; COMPUTE_PGM_RSRC2:SCRATCH_EN: 0
; COMPUTE_PGM_RSRC2:USER_SGPR: 2
; COMPUTE_PGM_RSRC2:TRAP_HANDLER: 0
; COMPUTE_PGM_RSRC2:TGID_X_EN: 1
; COMPUTE_PGM_RSRC2:TGID_Y_EN: 0
; COMPUTE_PGM_RSRC2:TGID_Z_EN: 0
; COMPUTE_PGM_RSRC2:TIDIG_COMP_CNT: 0
; COMPUTE_PGM_RSRC3_GFX90A:ACCUM_OFFSET: 7
; COMPUTE_PGM_RSRC3_GFX90A:TG_SPLIT: 0
	.section	.text._Z6kernelI14inclusive_scanILN6hipcub18BlockScanAlgorithmE1EEdLj256ELj8ELj100EEvPKT0_PS4_S4_,"axG",@progbits,_Z6kernelI14inclusive_scanILN6hipcub18BlockScanAlgorithmE1EEdLj256ELj8ELj100EEvPKT0_PS4_S4_,comdat
	.protected	_Z6kernelI14inclusive_scanILN6hipcub18BlockScanAlgorithmE1EEdLj256ELj8ELj100EEvPKT0_PS4_S4_ ; -- Begin function _Z6kernelI14inclusive_scanILN6hipcub18BlockScanAlgorithmE1EEdLj256ELj8ELj100EEvPKT0_PS4_S4_
	.globl	_Z6kernelI14inclusive_scanILN6hipcub18BlockScanAlgorithmE1EEdLj256ELj8ELj100EEvPKT0_PS4_S4_
	.p2align	8
	.type	_Z6kernelI14inclusive_scanILN6hipcub18BlockScanAlgorithmE1EEdLj256ELj8ELj100EEvPKT0_PS4_S4_,@function
_Z6kernelI14inclusive_scanILN6hipcub18BlockScanAlgorithmE1EEdLj256ELj8ELj100EEvPKT0_PS4_S4_: ; @_Z6kernelI14inclusive_scanILN6hipcub18BlockScanAlgorithmE1EEdLj256ELj8ELj100EEvPKT0_PS4_S4_
; %bb.0:
	s_load_dwordx4 s[4:7], s[0:1], 0x0
	s_load_dword s3, s[0:1], 0x24
	v_mov_b32_e32 v19, 0
	v_lshrrev_b32_e32 v1, 5, v0
	v_cmp_gt_u32_e32 vcc, 64, v0
	s_waitcnt lgkmcnt(0)
	v_mov_b32_e32 v2, s4
	s_and_b32 s0, s3, 0xffff
	s_mul_i32 s2, s2, s0
	v_mov_b32_e32 v3, s5
	v_add_lshl_u32 v18, s2, v0, 3
	v_lshl_add_u64 v[20:21], v[18:19], 3, v[2:3]
	global_load_dwordx4 v[2:5], v[20:21], off offset:48
	global_load_dwordx4 v[6:9], v[20:21], off offset:32
	;; [unrolled: 1-line block ×3, first 2 shown]
	global_load_dwordx4 v[14:17], v[20:21], off
	v_add_lshl_u32 v20, v1, v0, 3
	v_cmp_eq_u32_e64 s[0:1], 0, v0
	v_cmp_ne_u32_e64 s[2:3], 0, v0
	v_lshlrev_b32_e32 v1, 2, v0
	v_lshrrev_b32_e32 v21, 3, v0
	v_add_u32_e32 v0, -1, v0
	v_add_lshl_u32 v21, v21, v1, 3
	v_lshrrev_b32_e32 v1, 5, v0
	v_add_lshl_u32 v22, v1, v0, 3
	v_mbcnt_lo_u32_b32 v0, -1, 0
	s_movk_i32 s10, 0x64
	v_mbcnt_hi_u32_b32 v23, -1, v0
	s_branch .LBB39_2
.LBB39_1:                               ;   in Loop: Header=BB39_2 Depth=1
	s_or_b64 exec, exec, s[4:5]
	s_waitcnt lgkmcnt(0)
	v_add_f64 v[0:1], v[14:15], v[0:1]
	v_cndmask_b32_e64 v15, v1, v15, s[0:1]
	v_cndmask_b32_e64 v14, v0, v14, s[0:1]
	v_add_f64 v[16:17], v[16:17], v[14:15]
	v_add_f64 v[10:11], v[10:11], v[16:17]
	;; [unrolled: 1-line block ×6, first 2 shown]
	s_add_i32 s10, s10, -1
	s_cmp_lg_u32 s10, 0
	v_add_f64 v[4:5], v[4:5], v[2:3]
	s_cbranch_scc0 .LBB39_6
.LBB39_2:                               ; =>This Inner Loop Header: Depth=1
	s_waitcnt vmcnt(0)
	v_add_f64 v[0:1], v[16:17], v[14:15]
	v_add_f64 v[0:1], v[10:11], v[0:1]
	;; [unrolled: 1-line block ×7, first 2 shown]
	ds_write_b64 v20, v[0:1]
	s_waitcnt lgkmcnt(0)
	s_barrier
	s_and_saveexec_b64 s[8:9], vcc
	s_cbranch_execz .LBB39_4
; %bb.3:                                ;   in Loop: Header=BB39_2 Depth=1
	ds_read2_b64 v[24:27], v21 offset1:1
	ds_read2_b64 v[28:31], v21 offset0:2 offset1:3
	v_and_b32_e32 v36, 15, v23
	v_cmp_eq_u32_e64 s[4:5], 0, v36
	s_waitcnt lgkmcnt(1)
	v_add_f64 v[32:33], v[24:25], v[26:27]
	s_waitcnt lgkmcnt(0)
	v_add_f64 v[32:33], v[32:33], v[28:29]
	v_add_f64 v[32:33], v[32:33], v[30:31]
	s_nop 1
	v_mov_b32_dpp v34, v32 row_shr:1 row_mask:0xf bank_mask:0xf
	v_mov_b32_dpp v35, v33 row_shr:1 row_mask:0xf bank_mask:0xf
	v_add_f64 v[34:35], v[32:33], v[34:35]
	v_cndmask_b32_e64 v33, v35, v33, s[4:5]
	v_cndmask_b32_e64 v32, v34, v32, s[4:5]
	v_cmp_lt_u32_e64 s[4:5], 1, v36
	v_mov_b32_dpp v35, v33 row_shr:2 row_mask:0xf bank_mask:0xf
	v_mov_b32_dpp v34, v32 row_shr:2 row_mask:0xf bank_mask:0xf
	v_add_f64 v[34:35], v[32:33], v[34:35]
	v_cndmask_b32_e64 v32, v32, v34, s[4:5]
	v_cndmask_b32_e64 v33, v33, v35, s[4:5]
	v_cmp_lt_u32_e64 s[4:5], 3, v36
	;; [unrolled: 6-line block ×3, first 2 shown]
	v_mov_b32_dpp v34, v32 row_shr:8 row_mask:0xf bank_mask:0xf
	v_mov_b32_dpp v35, v33 row_shr:8 row_mask:0xf bank_mask:0xf
	v_add_f64 v[34:35], v[32:33], v[34:35]
	v_cndmask_b32_e64 v32, v32, v34, s[4:5]
	v_cndmask_b32_e64 v33, v33, v35, s[4:5]
	v_and_b32_e32 v36, 16, v23
	v_mov_b32_dpp v34, v32 row_bcast:15 row_mask:0xf bank_mask:0xf
	v_mov_b32_dpp v35, v33 row_bcast:15 row_mask:0xf bank_mask:0xf
	v_add_f64 v[34:35], v[32:33], v[34:35]
	v_cmp_eq_u32_e64 s[4:5], 0, v36
	s_nop 1
	v_cndmask_b32_e64 v33, v35, v33, s[4:5]
	v_cndmask_b32_e64 v32, v34, v32, s[4:5]
	v_cmp_lt_u32_e64 s[4:5], 31, v23
	v_mov_b32_dpp v35, v33 row_bcast:31 row_mask:0xf bank_mask:0xf
	v_mov_b32_dpp v34, v32 row_bcast:31 row_mask:0xf bank_mask:0xf
	v_add_f64 v[34:35], v[32:33], v[34:35]
	v_cndmask_b32_e64 v33, v33, v35, s[4:5]
	v_cndmask_b32_e64 v32, v32, v34, s[4:5]
	v_add_u32_e32 v34, -1, v23
	v_and_b32_e32 v35, 64, v23
	v_cmp_lt_i32_e64 s[4:5], v34, v35
	s_nop 1
	v_cndmask_b32_e64 v34, v34, v23, s[4:5]
	v_lshlrev_b32_e32 v34, 2, v34
	ds_bpermute_b32 v32, v34, v32
	ds_bpermute_b32 v33, v34, v33
	s_waitcnt lgkmcnt(0)
	v_add_f64 v[24:25], v[24:25], v[32:33]
	v_cndmask_b32_e64 v25, v25, v1, s[0:1]
	v_cndmask_b32_e64 v24, v24, v0, s[0:1]
	v_add_f64 v[26:27], v[26:27], v[24:25]
	ds_write2_b64 v21, v[24:25], v[26:27] offset1:1
	v_add_f64 v[24:25], v[28:29], v[26:27]
	v_add_f64 v[26:27], v[30:31], v[24:25]
	ds_write2_b64 v21, v[24:25], v[26:27] offset0:2 offset1:3
.LBB39_4:                               ;   in Loop: Header=BB39_2 Depth=1
	s_or_b64 exec, exec, s[8:9]
	s_waitcnt lgkmcnt(0)
	s_barrier
	s_and_saveexec_b64 s[4:5], s[2:3]
	s_cbranch_execz .LBB39_1
; %bb.5:                                ;   in Loop: Header=BB39_2 Depth=1
	ds_read_b64 v[0:1], v22
	s_branch .LBB39_1
.LBB39_6:
	v_mov_b32_e32 v0, s6
	v_mov_b32_e32 v1, s7
	v_lshl_add_u64 v[0:1], v[18:19], 3, v[0:1]
	global_store_dwordx4 v[0:1], v[14:17], off
	global_store_dwordx4 v[0:1], v[10:13], off offset:16
	global_store_dwordx4 v[0:1], v[6:9], off offset:32
	;; [unrolled: 1-line block ×3, first 2 shown]
	s_endpgm
	.section	.rodata,"a",@progbits
	.p2align	6, 0x0
	.amdhsa_kernel _Z6kernelI14inclusive_scanILN6hipcub18BlockScanAlgorithmE1EEdLj256ELj8ELj100EEvPKT0_PS4_S4_
		.amdhsa_group_segment_fixed_size 2112
		.amdhsa_private_segment_fixed_size 0
		.amdhsa_kernarg_size 280
		.amdhsa_user_sgpr_count 2
		.amdhsa_user_sgpr_dispatch_ptr 0
		.amdhsa_user_sgpr_queue_ptr 0
		.amdhsa_user_sgpr_kernarg_segment_ptr 1
		.amdhsa_user_sgpr_dispatch_id 0
		.amdhsa_user_sgpr_kernarg_preload_length 0
		.amdhsa_user_sgpr_kernarg_preload_offset 0
		.amdhsa_user_sgpr_private_segment_size 0
		.amdhsa_uses_dynamic_stack 0
		.amdhsa_enable_private_segment 0
		.amdhsa_system_sgpr_workgroup_id_x 1
		.amdhsa_system_sgpr_workgroup_id_y 0
		.amdhsa_system_sgpr_workgroup_id_z 0
		.amdhsa_system_sgpr_workgroup_info 0
		.amdhsa_system_vgpr_workitem_id 0
		.amdhsa_next_free_vgpr 37
		.amdhsa_next_free_sgpr 11
		.amdhsa_accum_offset 40
		.amdhsa_reserve_vcc 1
		.amdhsa_float_round_mode_32 0
		.amdhsa_float_round_mode_16_64 0
		.amdhsa_float_denorm_mode_32 3
		.amdhsa_float_denorm_mode_16_64 3
		.amdhsa_dx10_clamp 1
		.amdhsa_ieee_mode 1
		.amdhsa_fp16_overflow 0
		.amdhsa_tg_split 0
		.amdhsa_exception_fp_ieee_invalid_op 0
		.amdhsa_exception_fp_denorm_src 0
		.amdhsa_exception_fp_ieee_div_zero 0
		.amdhsa_exception_fp_ieee_overflow 0
		.amdhsa_exception_fp_ieee_underflow 0
		.amdhsa_exception_fp_ieee_inexact 0
		.amdhsa_exception_int_div_zero 0
	.end_amdhsa_kernel
	.section	.text._Z6kernelI14inclusive_scanILN6hipcub18BlockScanAlgorithmE1EEdLj256ELj8ELj100EEvPKT0_PS4_S4_,"axG",@progbits,_Z6kernelI14inclusive_scanILN6hipcub18BlockScanAlgorithmE1EEdLj256ELj8ELj100EEvPKT0_PS4_S4_,comdat
.Lfunc_end39:
	.size	_Z6kernelI14inclusive_scanILN6hipcub18BlockScanAlgorithmE1EEdLj256ELj8ELj100EEvPKT0_PS4_S4_, .Lfunc_end39-_Z6kernelI14inclusive_scanILN6hipcub18BlockScanAlgorithmE1EEdLj256ELj8ELj100EEvPKT0_PS4_S4_
                                        ; -- End function
	.section	.AMDGPU.csdata,"",@progbits
; Kernel info:
; codeLenInByte = 916
; NumSgprs: 17
; NumVgprs: 37
; NumAgprs: 0
; TotalNumVgprs: 37
; ScratchSize: 0
; MemoryBound: 0
; FloatMode: 240
; IeeeMode: 1
; LDSByteSize: 2112 bytes/workgroup (compile time only)
; SGPRBlocks: 2
; VGPRBlocks: 4
; NumSGPRsForWavesPerEU: 17
; NumVGPRsForWavesPerEU: 37
; AccumOffset: 40
; Occupancy: 8
; WaveLimiterHint : 0
; COMPUTE_PGM_RSRC2:SCRATCH_EN: 0
; COMPUTE_PGM_RSRC2:USER_SGPR: 2
; COMPUTE_PGM_RSRC2:TRAP_HANDLER: 0
; COMPUTE_PGM_RSRC2:TGID_X_EN: 1
; COMPUTE_PGM_RSRC2:TGID_Y_EN: 0
; COMPUTE_PGM_RSRC2:TGID_Z_EN: 0
; COMPUTE_PGM_RSRC2:TIDIG_COMP_CNT: 0
; COMPUTE_PGM_RSRC3_GFX90A:ACCUM_OFFSET: 9
; COMPUTE_PGM_RSRC3_GFX90A:TG_SPLIT: 0
	.section	.text._Z6kernelI14inclusive_scanILN6hipcub18BlockScanAlgorithmE1EEdLj256ELj11ELj100EEvPKT0_PS4_S4_,"axG",@progbits,_Z6kernelI14inclusive_scanILN6hipcub18BlockScanAlgorithmE1EEdLj256ELj11ELj100EEvPKT0_PS4_S4_,comdat
	.protected	_Z6kernelI14inclusive_scanILN6hipcub18BlockScanAlgorithmE1EEdLj256ELj11ELj100EEvPKT0_PS4_S4_ ; -- Begin function _Z6kernelI14inclusive_scanILN6hipcub18BlockScanAlgorithmE1EEdLj256ELj11ELj100EEvPKT0_PS4_S4_
	.globl	_Z6kernelI14inclusive_scanILN6hipcub18BlockScanAlgorithmE1EEdLj256ELj11ELj100EEvPKT0_PS4_S4_
	.p2align	8
	.type	_Z6kernelI14inclusive_scanILN6hipcub18BlockScanAlgorithmE1EEdLj256ELj11ELj100EEvPKT0_PS4_S4_,@function
_Z6kernelI14inclusive_scanILN6hipcub18BlockScanAlgorithmE1EEdLj256ELj11ELj100EEvPKT0_PS4_S4_: ; @_Z6kernelI14inclusive_scanILN6hipcub18BlockScanAlgorithmE1EEdLj256ELj11ELj100EEvPKT0_PS4_S4_
; %bb.0:
	s_load_dword s3, s[0:1], 0x24
	s_load_dwordx4 s[4:7], s[0:1], 0x0
	v_mov_b32_e32 v3, 0
	v_mov_b32_e32 v5, v3
	;; [unrolled: 1-line block ×3, first 2 shown]
	s_waitcnt lgkmcnt(0)
	s_and_b32 s0, s3, 0xffff
	s_mul_i32 s2, s2, s0
	v_add_u32_e32 v1, s2, v0
	v_mul_lo_u32 v2, v1, 11
	v_lshl_add_u64 v[18:19], v[2:3], 3, s[4:5]
	v_add_u32_e32 v4, 1, v2
	v_add_u32_e32 v6, 2, v2
	v_add_u32_e32 v8, 3, v2
	v_mov_b32_e32 v9, v3
	v_lshl_add_u64 v[20:21], v[4:5], 3, s[4:5]
	v_lshl_add_u64 v[22:23], v[6:7], 3, s[4:5]
	;; [unrolled: 1-line block ×3, first 2 shown]
	global_load_dwordx2 v[16:17], v[18:19], off
	global_load_dwordx2 v[14:15], v[20:21], off
	global_load_dwordx2 v[12:13], v[22:23], off
	global_load_dwordx2 v[10:11], v[24:25], off
	v_add_u32_e32 v18, 4, v2
	v_mov_b32_e32 v19, v3
	v_lshl_add_u64 v[34:35], v[18:19], 3, s[4:5]
	v_add_u32_e32 v20, 5, v2
	v_mov_b32_e32 v21, v3
	v_add_u32_e32 v22, 6, v2
	v_mov_b32_e32 v23, v3
	;; [unrolled: 2-line block ×3, first 2 shown]
	v_lshl_add_u64 v[36:37], v[20:21], 3, s[4:5]
	v_lshl_add_u64 v[38:39], v[22:23], 3, s[4:5]
	;; [unrolled: 1-line block ×3, first 2 shown]
	global_load_dwordx2 v[32:33], v[34:35], off
	global_load_dwordx2 v[30:31], v[36:37], off
	global_load_dwordx2 v[28:29], v[38:39], off
	global_load_dwordx2 v[26:27], v[40:41], off
	v_add_u32_e32 v34, 8, v2
	v_mov_b32_e32 v35, v3
	v_lshl_add_u64 v[46:47], v[34:35], 3, s[4:5]
	v_add_u32_e32 v36, 9, v2
	v_mov_b32_e32 v37, v3
	v_add_u32_e32 v38, 10, v2
	v_mov_b32_e32 v39, v3
	v_lshl_add_u64 v[48:49], v[36:37], 3, s[4:5]
	v_lshl_add_u64 v[50:51], v[38:39], 3, s[4:5]
	global_load_dwordx2 v[44:45], v[46:47], off
	global_load_dwordx2 v[42:43], v[48:49], off
	;; [unrolled: 1-line block ×3, first 2 shown]
	v_lshrrev_b32_e32 v1, 5, v0
	v_add_lshl_u32 v46, v1, v0, 3
	v_cmp_gt_u32_e32 vcc, 64, v0
	v_cmp_eq_u32_e64 s[0:1], 0, v0
	v_cmp_ne_u32_e64 s[2:3], 0, v0
	v_lshlrev_b32_e32 v1, 2, v0
	v_lshrrev_b32_e32 v47, 3, v0
	v_add_u32_e32 v0, -1, v0
	v_add_lshl_u32 v47, v47, v1, 3
	v_lshrrev_b32_e32 v1, 5, v0
	v_add_lshl_u32 v48, v1, v0, 3
	v_mbcnt_lo_u32_b32 v0, -1, 0
	s_movk_i32 s10, 0x64
	v_mbcnt_hi_u32_b32 v49, -1, v0
	s_branch .LBB40_2
.LBB40_1:                               ;   in Loop: Header=BB40_2 Depth=1
	s_or_b64 exec, exec, s[4:5]
	s_waitcnt lgkmcnt(0)
	v_add_f64 v[0:1], v[16:17], v[0:1]
	v_cndmask_b32_e64 v17, v1, v17, s[0:1]
	v_cndmask_b32_e64 v16, v0, v16, s[0:1]
	v_add_f64 v[14:15], v[14:15], v[16:17]
	v_add_f64 v[12:13], v[12:13], v[14:15]
	;; [unrolled: 1-line block ×9, first 2 shown]
	s_add_i32 s10, s10, -1
	s_cmp_lg_u32 s10, 0
	v_add_f64 v[40:41], v[40:41], v[42:43]
	s_cbranch_scc0 .LBB40_6
.LBB40_2:                               ; =>This Inner Loop Header: Depth=1
	s_waitcnt vmcnt(9)
	v_add_f64 v[0:1], v[14:15], v[16:17]
	s_waitcnt vmcnt(8)
	v_add_f64 v[0:1], v[12:13], v[0:1]
	s_waitcnt vmcnt(7)
	v_add_f64 v[0:1], v[10:11], v[0:1]
	s_waitcnt vmcnt(6)
	v_add_f64 v[0:1], v[32:33], v[0:1]
	s_waitcnt vmcnt(5)
	v_add_f64 v[0:1], v[30:31], v[0:1]
	s_waitcnt vmcnt(4)
	v_add_f64 v[0:1], v[28:29], v[0:1]
	s_waitcnt vmcnt(3)
	v_add_f64 v[0:1], v[26:27], v[0:1]
	s_waitcnt vmcnt(2)
	v_add_f64 v[0:1], v[44:45], v[0:1]
	s_waitcnt vmcnt(1)
	v_add_f64 v[0:1], v[42:43], v[0:1]
	s_waitcnt vmcnt(0)
	v_add_f64 v[0:1], v[40:41], v[0:1]
	ds_write_b64 v46, v[0:1]
	s_waitcnt lgkmcnt(0)
	s_barrier
	s_and_saveexec_b64 s[8:9], vcc
	s_cbranch_execz .LBB40_4
; %bb.3:                                ;   in Loop: Header=BB40_2 Depth=1
	ds_read2_b64 v[50:53], v47 offset1:1
	ds_read2_b64 v[54:57], v47 offset0:2 offset1:3
	v_and_b32_e32 v62, 15, v49
	v_cmp_eq_u32_e64 s[4:5], 0, v62
	s_waitcnt lgkmcnt(1)
	v_add_f64 v[58:59], v[50:51], v[52:53]
	s_waitcnt lgkmcnt(0)
	v_add_f64 v[58:59], v[58:59], v[54:55]
	v_add_f64 v[58:59], v[58:59], v[56:57]
	s_nop 1
	v_mov_b32_dpp v60, v58 row_shr:1 row_mask:0xf bank_mask:0xf
	v_mov_b32_dpp v61, v59 row_shr:1 row_mask:0xf bank_mask:0xf
	v_add_f64 v[60:61], v[58:59], v[60:61]
	v_cndmask_b32_e64 v59, v61, v59, s[4:5]
	v_cndmask_b32_e64 v58, v60, v58, s[4:5]
	v_cmp_lt_u32_e64 s[4:5], 1, v62
	v_mov_b32_dpp v61, v59 row_shr:2 row_mask:0xf bank_mask:0xf
	v_mov_b32_dpp v60, v58 row_shr:2 row_mask:0xf bank_mask:0xf
	v_add_f64 v[60:61], v[58:59], v[60:61]
	v_cndmask_b32_e64 v58, v58, v60, s[4:5]
	v_cndmask_b32_e64 v59, v59, v61, s[4:5]
	v_cmp_lt_u32_e64 s[4:5], 3, v62
	;; [unrolled: 6-line block ×3, first 2 shown]
	v_mov_b32_dpp v60, v58 row_shr:8 row_mask:0xf bank_mask:0xf
	v_mov_b32_dpp v61, v59 row_shr:8 row_mask:0xf bank_mask:0xf
	v_add_f64 v[60:61], v[58:59], v[60:61]
	v_cndmask_b32_e64 v58, v58, v60, s[4:5]
	v_cndmask_b32_e64 v59, v59, v61, s[4:5]
	v_and_b32_e32 v62, 16, v49
	v_mov_b32_dpp v60, v58 row_bcast:15 row_mask:0xf bank_mask:0xf
	v_mov_b32_dpp v61, v59 row_bcast:15 row_mask:0xf bank_mask:0xf
	v_add_f64 v[60:61], v[58:59], v[60:61]
	v_cmp_eq_u32_e64 s[4:5], 0, v62
	s_nop 1
	v_cndmask_b32_e64 v59, v61, v59, s[4:5]
	v_cndmask_b32_e64 v58, v60, v58, s[4:5]
	v_cmp_lt_u32_e64 s[4:5], 31, v49
	v_mov_b32_dpp v61, v59 row_bcast:31 row_mask:0xf bank_mask:0xf
	v_mov_b32_dpp v60, v58 row_bcast:31 row_mask:0xf bank_mask:0xf
	v_add_f64 v[60:61], v[58:59], v[60:61]
	v_cndmask_b32_e64 v59, v59, v61, s[4:5]
	v_cndmask_b32_e64 v58, v58, v60, s[4:5]
	v_add_u32_e32 v60, -1, v49
	v_and_b32_e32 v61, 64, v49
	v_cmp_lt_i32_e64 s[4:5], v60, v61
	s_nop 1
	v_cndmask_b32_e64 v60, v60, v49, s[4:5]
	v_lshlrev_b32_e32 v60, 2, v60
	ds_bpermute_b32 v58, v60, v58
	ds_bpermute_b32 v59, v60, v59
	s_waitcnt lgkmcnt(0)
	v_add_f64 v[50:51], v[50:51], v[58:59]
	v_cndmask_b32_e64 v51, v51, v1, s[0:1]
	v_cndmask_b32_e64 v50, v50, v0, s[0:1]
	v_add_f64 v[52:53], v[52:53], v[50:51]
	ds_write2_b64 v47, v[50:51], v[52:53] offset1:1
	v_add_f64 v[50:51], v[54:55], v[52:53]
	v_add_f64 v[52:53], v[56:57], v[50:51]
	ds_write2_b64 v47, v[50:51], v[52:53] offset0:2 offset1:3
.LBB40_4:                               ;   in Loop: Header=BB40_2 Depth=1
	s_or_b64 exec, exec, s[8:9]
	s_waitcnt lgkmcnt(0)
	s_barrier
	s_and_saveexec_b64 s[4:5], s[2:3]
	s_cbranch_execz .LBB40_1
; %bb.5:                                ;   in Loop: Header=BB40_2 Depth=1
	ds_read_b64 v[0:1], v48
	s_branch .LBB40_1
.LBB40_6:
	v_lshl_add_u64 v[0:1], v[2:3], 3, s[6:7]
	global_store_dwordx2 v[0:1], v[16:17], off
	v_lshl_add_u64 v[0:1], v[4:5], 3, s[6:7]
	global_store_dwordx2 v[0:1], v[14:15], off
	;; [unrolled: 2-line block ×11, first 2 shown]
	s_endpgm
	.section	.rodata,"a",@progbits
	.p2align	6, 0x0
	.amdhsa_kernel _Z6kernelI14inclusive_scanILN6hipcub18BlockScanAlgorithmE1EEdLj256ELj11ELj100EEvPKT0_PS4_S4_
		.amdhsa_group_segment_fixed_size 2112
		.amdhsa_private_segment_fixed_size 0
		.amdhsa_kernarg_size 280
		.amdhsa_user_sgpr_count 2
		.amdhsa_user_sgpr_dispatch_ptr 0
		.amdhsa_user_sgpr_queue_ptr 0
		.amdhsa_user_sgpr_kernarg_segment_ptr 1
		.amdhsa_user_sgpr_dispatch_id 0
		.amdhsa_user_sgpr_kernarg_preload_length 0
		.amdhsa_user_sgpr_kernarg_preload_offset 0
		.amdhsa_user_sgpr_private_segment_size 0
		.amdhsa_uses_dynamic_stack 0
		.amdhsa_enable_private_segment 0
		.amdhsa_system_sgpr_workgroup_id_x 1
		.amdhsa_system_sgpr_workgroup_id_y 0
		.amdhsa_system_sgpr_workgroup_id_z 0
		.amdhsa_system_sgpr_workgroup_info 0
		.amdhsa_system_vgpr_workitem_id 0
		.amdhsa_next_free_vgpr 63
		.amdhsa_next_free_sgpr 11
		.amdhsa_accum_offset 64
		.amdhsa_reserve_vcc 1
		.amdhsa_float_round_mode_32 0
		.amdhsa_float_round_mode_16_64 0
		.amdhsa_float_denorm_mode_32 3
		.amdhsa_float_denorm_mode_16_64 3
		.amdhsa_dx10_clamp 1
		.amdhsa_ieee_mode 1
		.amdhsa_fp16_overflow 0
		.amdhsa_tg_split 0
		.amdhsa_exception_fp_ieee_invalid_op 0
		.amdhsa_exception_fp_denorm_src 0
		.amdhsa_exception_fp_ieee_div_zero 0
		.amdhsa_exception_fp_ieee_overflow 0
		.amdhsa_exception_fp_ieee_underflow 0
		.amdhsa_exception_fp_ieee_inexact 0
		.amdhsa_exception_int_div_zero 0
	.end_amdhsa_kernel
	.section	.text._Z6kernelI14inclusive_scanILN6hipcub18BlockScanAlgorithmE1EEdLj256ELj11ELj100EEvPKT0_PS4_S4_,"axG",@progbits,_Z6kernelI14inclusive_scanILN6hipcub18BlockScanAlgorithmE1EEdLj256ELj11ELj100EEvPKT0_PS4_S4_,comdat
.Lfunc_end40:
	.size	_Z6kernelI14inclusive_scanILN6hipcub18BlockScanAlgorithmE1EEdLj256ELj11ELj100EEvPKT0_PS4_S4_, .Lfunc_end40-_Z6kernelI14inclusive_scanILN6hipcub18BlockScanAlgorithmE1EEdLj256ELj11ELj100EEvPKT0_PS4_S4_
                                        ; -- End function
	.section	.AMDGPU.csdata,"",@progbits
; Kernel info:
; codeLenInByte = 1340
; NumSgprs: 17
; NumVgprs: 63
; NumAgprs: 0
; TotalNumVgprs: 63
; ScratchSize: 0
; MemoryBound: 0
; FloatMode: 240
; IeeeMode: 1
; LDSByteSize: 2112 bytes/workgroup (compile time only)
; SGPRBlocks: 2
; VGPRBlocks: 7
; NumSGPRsForWavesPerEU: 17
; NumVGPRsForWavesPerEU: 63
; AccumOffset: 64
; Occupancy: 8
; WaveLimiterHint : 0
; COMPUTE_PGM_RSRC2:SCRATCH_EN: 0
; COMPUTE_PGM_RSRC2:USER_SGPR: 2
; COMPUTE_PGM_RSRC2:TRAP_HANDLER: 0
; COMPUTE_PGM_RSRC2:TGID_X_EN: 1
; COMPUTE_PGM_RSRC2:TGID_Y_EN: 0
; COMPUTE_PGM_RSRC2:TGID_Z_EN: 0
; COMPUTE_PGM_RSRC2:TIDIG_COMP_CNT: 0
; COMPUTE_PGM_RSRC3_GFX90A:ACCUM_OFFSET: 15
; COMPUTE_PGM_RSRC3_GFX90A:TG_SPLIT: 0
	.section	.text._Z6kernelI14inclusive_scanILN6hipcub18BlockScanAlgorithmE1EEdLj256ELj16ELj100EEvPKT0_PS4_S4_,"axG",@progbits,_Z6kernelI14inclusive_scanILN6hipcub18BlockScanAlgorithmE1EEdLj256ELj16ELj100EEvPKT0_PS4_S4_,comdat
	.protected	_Z6kernelI14inclusive_scanILN6hipcub18BlockScanAlgorithmE1EEdLj256ELj16ELj100EEvPKT0_PS4_S4_ ; -- Begin function _Z6kernelI14inclusive_scanILN6hipcub18BlockScanAlgorithmE1EEdLj256ELj16ELj100EEvPKT0_PS4_S4_
	.globl	_Z6kernelI14inclusive_scanILN6hipcub18BlockScanAlgorithmE1EEdLj256ELj16ELj100EEvPKT0_PS4_S4_
	.p2align	8
	.type	_Z6kernelI14inclusive_scanILN6hipcub18BlockScanAlgorithmE1EEdLj256ELj16ELj100EEvPKT0_PS4_S4_,@function
_Z6kernelI14inclusive_scanILN6hipcub18BlockScanAlgorithmE1EEdLj256ELj16ELj100EEvPKT0_PS4_S4_: ; @_Z6kernelI14inclusive_scanILN6hipcub18BlockScanAlgorithmE1EEdLj256ELj16ELj100EEvPKT0_PS4_S4_
; %bb.0:
	s_load_dwordx4 s[4:7], s[0:1], 0x0
	s_load_dword s3, s[0:1], 0x24
	v_mov_b32_e32 v35, 0
	v_lshrrev_b32_e32 v1, 5, v0
	v_cmp_gt_u32_e32 vcc, 64, v0
	s_waitcnt lgkmcnt(0)
	v_mov_b32_e32 v2, s4
	s_and_b32 s0, s3, 0xffff
	s_mul_i32 s2, s2, s0
	v_mov_b32_e32 v3, s5
	v_add_lshl_u32 v34, s2, v0, 4
	v_lshl_add_u64 v[36:37], v[34:35], 3, v[2:3]
	global_load_dwordx4 v[2:5], v[36:37], off offset:48
	global_load_dwordx4 v[10:13], v[36:37], off offset:32
	;; [unrolled: 1-line block ×3, first 2 shown]
	global_load_dwordx4 v[26:29], v[36:37], off
	global_load_dwordx4 v[6:9], v[36:37], off offset:112
	global_load_dwordx4 v[14:17], v[36:37], off offset:96
	;; [unrolled: 1-line block ×4, first 2 shown]
	v_add_lshl_u32 v36, v1, v0, 3
	v_cmp_eq_u32_e64 s[0:1], 0, v0
	v_cmp_ne_u32_e64 s[2:3], 0, v0
	v_lshlrev_b32_e32 v1, 2, v0
	v_lshrrev_b32_e32 v37, 3, v0
	v_add_u32_e32 v0, -1, v0
	v_add_lshl_u32 v37, v37, v1, 3
	v_lshrrev_b32_e32 v1, 5, v0
	v_add_lshl_u32 v38, v1, v0, 3
	v_mbcnt_lo_u32_b32 v0, -1, 0
	s_movk_i32 s10, 0x64
	v_mbcnt_hi_u32_b32 v39, -1, v0
	s_branch .LBB41_2
.LBB41_1:                               ;   in Loop: Header=BB41_2 Depth=1
	s_or_b64 exec, exec, s[4:5]
	s_waitcnt lgkmcnt(0)
	v_add_f64 v[0:1], v[26:27], v[0:1]
	v_cndmask_b32_e64 v27, v1, v27, s[0:1]
	v_cndmask_b32_e64 v26, v0, v26, s[0:1]
	v_add_f64 v[28:29], v[28:29], v[26:27]
	v_add_f64 v[18:19], v[18:19], v[28:29]
	;; [unrolled: 1-line block ×14, first 2 shown]
	s_add_i32 s10, s10, -1
	s_cmp_lg_u32 s10, 0
	v_add_f64 v[8:9], v[8:9], v[6:7]
	s_cbranch_scc0 .LBB41_6
.LBB41_2:                               ; =>This Inner Loop Header: Depth=1
	s_waitcnt vmcnt(4)
	v_add_f64 v[0:1], v[28:29], v[26:27]
	v_add_f64 v[0:1], v[18:19], v[0:1]
	;; [unrolled: 1-line block ×7, first 2 shown]
	s_waitcnt vmcnt(0)
	v_add_f64 v[0:1], v[30:31], v[0:1]
	v_add_f64 v[0:1], v[32:33], v[0:1]
	;; [unrolled: 1-line block ×8, first 2 shown]
	ds_write_b64 v36, v[0:1]
	s_waitcnt lgkmcnt(0)
	s_barrier
	s_and_saveexec_b64 s[8:9], vcc
	s_cbranch_execz .LBB41_4
; %bb.3:                                ;   in Loop: Header=BB41_2 Depth=1
	ds_read2_b64 v[40:43], v37 offset1:1
	ds_read2_b64 v[44:47], v37 offset0:2 offset1:3
	v_and_b32_e32 v52, 15, v39
	v_cmp_eq_u32_e64 s[4:5], 0, v52
	s_waitcnt lgkmcnt(1)
	v_add_f64 v[48:49], v[40:41], v[42:43]
	s_waitcnt lgkmcnt(0)
	v_add_f64 v[48:49], v[48:49], v[44:45]
	v_add_f64 v[48:49], v[48:49], v[46:47]
	s_nop 1
	v_mov_b32_dpp v50, v48 row_shr:1 row_mask:0xf bank_mask:0xf
	v_mov_b32_dpp v51, v49 row_shr:1 row_mask:0xf bank_mask:0xf
	v_add_f64 v[50:51], v[48:49], v[50:51]
	v_cndmask_b32_e64 v49, v51, v49, s[4:5]
	v_cndmask_b32_e64 v48, v50, v48, s[4:5]
	v_cmp_lt_u32_e64 s[4:5], 1, v52
	v_mov_b32_dpp v51, v49 row_shr:2 row_mask:0xf bank_mask:0xf
	v_mov_b32_dpp v50, v48 row_shr:2 row_mask:0xf bank_mask:0xf
	v_add_f64 v[50:51], v[48:49], v[50:51]
	v_cndmask_b32_e64 v48, v48, v50, s[4:5]
	v_cndmask_b32_e64 v49, v49, v51, s[4:5]
	v_cmp_lt_u32_e64 s[4:5], 3, v52
	;; [unrolled: 6-line block ×3, first 2 shown]
	v_mov_b32_dpp v50, v48 row_shr:8 row_mask:0xf bank_mask:0xf
	v_mov_b32_dpp v51, v49 row_shr:8 row_mask:0xf bank_mask:0xf
	v_add_f64 v[50:51], v[48:49], v[50:51]
	v_cndmask_b32_e64 v48, v48, v50, s[4:5]
	v_cndmask_b32_e64 v49, v49, v51, s[4:5]
	v_and_b32_e32 v52, 16, v39
	v_mov_b32_dpp v50, v48 row_bcast:15 row_mask:0xf bank_mask:0xf
	v_mov_b32_dpp v51, v49 row_bcast:15 row_mask:0xf bank_mask:0xf
	v_add_f64 v[50:51], v[48:49], v[50:51]
	v_cmp_eq_u32_e64 s[4:5], 0, v52
	s_nop 1
	v_cndmask_b32_e64 v49, v51, v49, s[4:5]
	v_cndmask_b32_e64 v48, v50, v48, s[4:5]
	v_cmp_lt_u32_e64 s[4:5], 31, v39
	v_mov_b32_dpp v51, v49 row_bcast:31 row_mask:0xf bank_mask:0xf
	v_mov_b32_dpp v50, v48 row_bcast:31 row_mask:0xf bank_mask:0xf
	v_add_f64 v[50:51], v[48:49], v[50:51]
	v_cndmask_b32_e64 v49, v49, v51, s[4:5]
	v_cndmask_b32_e64 v48, v48, v50, s[4:5]
	v_add_u32_e32 v50, -1, v39
	v_and_b32_e32 v51, 64, v39
	v_cmp_lt_i32_e64 s[4:5], v50, v51
	s_nop 1
	v_cndmask_b32_e64 v50, v50, v39, s[4:5]
	v_lshlrev_b32_e32 v50, 2, v50
	ds_bpermute_b32 v48, v50, v48
	ds_bpermute_b32 v49, v50, v49
	s_waitcnt lgkmcnt(0)
	v_add_f64 v[40:41], v[40:41], v[48:49]
	v_cndmask_b32_e64 v41, v41, v1, s[0:1]
	v_cndmask_b32_e64 v40, v40, v0, s[0:1]
	v_add_f64 v[42:43], v[42:43], v[40:41]
	ds_write2_b64 v37, v[40:41], v[42:43] offset1:1
	v_add_f64 v[40:41], v[44:45], v[42:43]
	v_add_f64 v[42:43], v[46:47], v[40:41]
	ds_write2_b64 v37, v[40:41], v[42:43] offset0:2 offset1:3
.LBB41_4:                               ;   in Loop: Header=BB41_2 Depth=1
	s_or_b64 exec, exec, s[8:9]
	s_waitcnt lgkmcnt(0)
	s_barrier
	s_and_saveexec_b64 s[4:5], s[2:3]
	s_cbranch_execz .LBB41_1
; %bb.5:                                ;   in Loop: Header=BB41_2 Depth=1
	ds_read_b64 v[0:1], v38
	s_branch .LBB41_1
.LBB41_6:
	v_mov_b32_e32 v0, s6
	v_mov_b32_e32 v1, s7
	v_lshl_add_u64 v[0:1], v[34:35], 3, v[0:1]
	global_store_dwordx4 v[0:1], v[26:29], off
	global_store_dwordx4 v[0:1], v[18:21], off offset:16
	global_store_dwordx4 v[0:1], v[10:13], off offset:32
	;; [unrolled: 1-line block ×7, first 2 shown]
	s_endpgm
	.section	.rodata,"a",@progbits
	.p2align	6, 0x0
	.amdhsa_kernel _Z6kernelI14inclusive_scanILN6hipcub18BlockScanAlgorithmE1EEdLj256ELj16ELj100EEvPKT0_PS4_S4_
		.amdhsa_group_segment_fixed_size 2112
		.amdhsa_private_segment_fixed_size 0
		.amdhsa_kernarg_size 280
		.amdhsa_user_sgpr_count 2
		.amdhsa_user_sgpr_dispatch_ptr 0
		.amdhsa_user_sgpr_queue_ptr 0
		.amdhsa_user_sgpr_kernarg_segment_ptr 1
		.amdhsa_user_sgpr_dispatch_id 0
		.amdhsa_user_sgpr_kernarg_preload_length 0
		.amdhsa_user_sgpr_kernarg_preload_offset 0
		.amdhsa_user_sgpr_private_segment_size 0
		.amdhsa_uses_dynamic_stack 0
		.amdhsa_enable_private_segment 0
		.amdhsa_system_sgpr_workgroup_id_x 1
		.amdhsa_system_sgpr_workgroup_id_y 0
		.amdhsa_system_sgpr_workgroup_id_z 0
		.amdhsa_system_sgpr_workgroup_info 0
		.amdhsa_system_vgpr_workitem_id 0
		.amdhsa_next_free_vgpr 53
		.amdhsa_next_free_sgpr 11
		.amdhsa_accum_offset 56
		.amdhsa_reserve_vcc 1
		.amdhsa_float_round_mode_32 0
		.amdhsa_float_round_mode_16_64 0
		.amdhsa_float_denorm_mode_32 3
		.amdhsa_float_denorm_mode_16_64 3
		.amdhsa_dx10_clamp 1
		.amdhsa_ieee_mode 1
		.amdhsa_fp16_overflow 0
		.amdhsa_tg_split 0
		.amdhsa_exception_fp_ieee_invalid_op 0
		.amdhsa_exception_fp_denorm_src 0
		.amdhsa_exception_fp_ieee_div_zero 0
		.amdhsa_exception_fp_ieee_overflow 0
		.amdhsa_exception_fp_ieee_underflow 0
		.amdhsa_exception_fp_ieee_inexact 0
		.amdhsa_exception_int_div_zero 0
	.end_amdhsa_kernel
	.section	.text._Z6kernelI14inclusive_scanILN6hipcub18BlockScanAlgorithmE1EEdLj256ELj16ELj100EEvPKT0_PS4_S4_,"axG",@progbits,_Z6kernelI14inclusive_scanILN6hipcub18BlockScanAlgorithmE1EEdLj256ELj16ELj100EEvPKT0_PS4_S4_,comdat
.Lfunc_end41:
	.size	_Z6kernelI14inclusive_scanILN6hipcub18BlockScanAlgorithmE1EEdLj256ELj16ELj100EEvPKT0_PS4_S4_, .Lfunc_end41-_Z6kernelI14inclusive_scanILN6hipcub18BlockScanAlgorithmE1EEdLj256ELj16ELj100EEvPKT0_PS4_S4_
                                        ; -- End function
	.section	.AMDGPU.csdata,"",@progbits
; Kernel info:
; codeLenInByte = 1112
; NumSgprs: 17
; NumVgprs: 53
; NumAgprs: 0
; TotalNumVgprs: 53
; ScratchSize: 0
; MemoryBound: 1
; FloatMode: 240
; IeeeMode: 1
; LDSByteSize: 2112 bytes/workgroup (compile time only)
; SGPRBlocks: 2
; VGPRBlocks: 6
; NumSGPRsForWavesPerEU: 17
; NumVGPRsForWavesPerEU: 53
; AccumOffset: 56
; Occupancy: 8
; WaveLimiterHint : 0
; COMPUTE_PGM_RSRC2:SCRATCH_EN: 0
; COMPUTE_PGM_RSRC2:USER_SGPR: 2
; COMPUTE_PGM_RSRC2:TRAP_HANDLER: 0
; COMPUTE_PGM_RSRC2:TGID_X_EN: 1
; COMPUTE_PGM_RSRC2:TGID_Y_EN: 0
; COMPUTE_PGM_RSRC2:TGID_Z_EN: 0
; COMPUTE_PGM_RSRC2:TIDIG_COMP_CNT: 0
; COMPUTE_PGM_RSRC3_GFX90A:ACCUM_OFFSET: 13
; COMPUTE_PGM_RSRC3_GFX90A:TG_SPLIT: 0
	.section	.text._Z6kernelI14inclusive_scanILN6hipcub18BlockScanAlgorithmE1EEhLj256ELj1ELj100EEvPKT0_PS4_S4_,"axG",@progbits,_Z6kernelI14inclusive_scanILN6hipcub18BlockScanAlgorithmE1EEhLj256ELj1ELj100EEvPKT0_PS4_S4_,comdat
	.protected	_Z6kernelI14inclusive_scanILN6hipcub18BlockScanAlgorithmE1EEhLj256ELj1ELj100EEvPKT0_PS4_S4_ ; -- Begin function _Z6kernelI14inclusive_scanILN6hipcub18BlockScanAlgorithmE1EEhLj256ELj1ELj100EEvPKT0_PS4_S4_
	.globl	_Z6kernelI14inclusive_scanILN6hipcub18BlockScanAlgorithmE1EEhLj256ELj1ELj100EEvPKT0_PS4_S4_
	.p2align	8
	.type	_Z6kernelI14inclusive_scanILN6hipcub18BlockScanAlgorithmE1EEhLj256ELj1ELj100EEvPKT0_PS4_S4_,@function
_Z6kernelI14inclusive_scanILN6hipcub18BlockScanAlgorithmE1EEhLj256ELj1ELj100EEvPKT0_PS4_S4_: ; @_Z6kernelI14inclusive_scanILN6hipcub18BlockScanAlgorithmE1EEhLj256ELj1ELj100EEvPKT0_PS4_S4_
; %bb.0:
	s_load_dword s3, s[0:1], 0x24
	s_load_dwordx4 s[4:7], s[0:1], 0x0
	v_lshrrev_b32_e32 v1, 5, v0
	v_lshrrev_b32_e32 v4, 3, v0
	v_add_u32_e32 v1, v1, v0
	s_waitcnt lgkmcnt(0)
	s_and_b32 s0, s3, 0xffff
	s_mul_i32 s2, s2, s0
	v_add_u32_e32 v2, s2, v0
	global_load_ubyte v5, v2, s[4:5]
	v_cmp_gt_u32_e32 vcc, 64, v0
	v_lshl_add_u32 v4, v0, 2, v4
	v_cmp_eq_u32_e64 s[0:1], 0, v0
	v_mbcnt_lo_u32_b32 v0, -1, 0
	v_mbcnt_hi_u32_b32 v0, -1, v0
	v_mov_b32_e32 v3, 0
	s_movk_i32 s8, 0x64
	v_and_b32_e32 v6, 15, v0
	v_and_b32_e32 v7, 16, v0
	v_add_u32_e32 v8, -1, v0
	v_and_b32_e32 v9, 64, v0
	s_branch .LBB42_2
.LBB42_1:                               ;   in Loop: Header=BB42_2 Depth=1
	s_or_b64 exec, exec, s[4:5]
	s_waitcnt lgkmcnt(0)
	s_barrier
	ds_read_u8 v5, v1
	s_add_i32 s8, s8, -1
	s_cmp_lg_u32 s8, 0
	s_cbranch_scc0 .LBB42_4
.LBB42_2:                               ; =>This Inner Loop Header: Depth=1
	s_waitcnt vmcnt(0) lgkmcnt(0)
	ds_write_b8 v1, v5
	s_waitcnt lgkmcnt(0)
	s_barrier
	s_and_saveexec_b64 s[4:5], vcc
	s_cbranch_execz .LBB42_1
; %bb.3:                                ;   in Loop: Header=BB42_2 Depth=1
	ds_read_u8 v10, v4
	ds_read_u8 v11, v4 offset:1
	ds_read_u8 v12, v4 offset:2
	;; [unrolled: 1-line block ×3, first 2 shown]
	v_cmp_ne_u32_e64 s[2:3], 0, v6
	s_waitcnt lgkmcnt(2)
	v_add_u16_e32 v14, v11, v10
	s_waitcnt lgkmcnt(1)
	v_add_u16_e32 v14, v14, v12
	;; [unrolled: 2-line block ×3, first 2 shown]
	v_and_b32_e32 v15, 0xff, v14
	s_nop 1
	v_mov_b32_dpp v15, v15 row_shr:1 row_mask:0xf bank_mask:0xf
	v_cndmask_b32_e64 v15, 0, v15, s[2:3]
	v_add_u16_e32 v14, v15, v14
	v_and_b32_e32 v15, 0xff, v14
	v_cmp_lt_u32_e64 s[2:3], 1, v6
	s_nop 0
	v_mov_b32_dpp v15, v15 row_shr:2 row_mask:0xf bank_mask:0xf
	v_cndmask_b32_e64 v15, 0, v15, s[2:3]
	v_add_u16_e32 v14, v14, v15
	v_and_b32_e32 v15, 0xff, v14
	v_cmp_lt_u32_e64 s[2:3], 3, v6
	;; [unrolled: 6-line block ×3, first 2 shown]
	s_nop 0
	v_mov_b32_dpp v15, v15 row_shr:8 row_mask:0xf bank_mask:0xf
	v_cndmask_b32_e64 v15, 0, v15, s[2:3]
	v_add_u16_e32 v14, v14, v15
	v_and_b32_e32 v15, 0xff, v14
	v_cmp_ne_u32_e64 s[2:3], 0, v7
	s_nop 0
	v_mov_b32_dpp v15, v15 row_bcast:15 row_mask:0xf bank_mask:0xf
	v_cndmask_b32_e64 v15, 0, v15, s[2:3]
	v_add_u16_e32 v14, v14, v15
	v_and_b32_e32 v15, 0xff, v14
	v_cmp_lt_u32_e64 s[2:3], 31, v0
	s_nop 0
	v_mov_b32_dpp v15, v15 row_bcast:31 row_mask:0xf bank_mask:0xf
	v_cndmask_b32_e64 v15, 0, v15, s[2:3]
	v_cmp_lt_i32_e64 s[2:3], v8, v9
	v_add_u16_e32 v14, v14, v15
	v_and_b32_e32 v14, 0xff, v14
	v_cndmask_b32_e64 v15, v8, v0, s[2:3]
	v_lshlrev_b32_e32 v15, 2, v15
	ds_bpermute_b32 v14, v15, v14
	s_waitcnt lgkmcnt(0)
	v_add_u16_e32 v10, v10, v14
	v_cndmask_b32_e64 v5, v10, v5, s[0:1]
	ds_write_b8 v4, v5
	v_add_u16_e32 v5, v5, v11
	ds_write_b8 v4, v5 offset:1
	v_add_u16_e32 v5, v5, v12
	ds_write_b8 v4, v5 offset:2
	;; [unrolled: 2-line block ×3, first 2 shown]
	s_branch .LBB42_1
.LBB42_4:
	v_lshl_add_u64 v[0:1], s[6:7], 0, v[2:3]
	s_waitcnt lgkmcnt(0)
	global_store_byte v[0:1], v5, off
	s_endpgm
	.section	.rodata,"a",@progbits
	.p2align	6, 0x0
	.amdhsa_kernel _Z6kernelI14inclusive_scanILN6hipcub18BlockScanAlgorithmE1EEhLj256ELj1ELj100EEvPKT0_PS4_S4_
		.amdhsa_group_segment_fixed_size 264
		.amdhsa_private_segment_fixed_size 0
		.amdhsa_kernarg_size 280
		.amdhsa_user_sgpr_count 2
		.amdhsa_user_sgpr_dispatch_ptr 0
		.amdhsa_user_sgpr_queue_ptr 0
		.amdhsa_user_sgpr_kernarg_segment_ptr 1
		.amdhsa_user_sgpr_dispatch_id 0
		.amdhsa_user_sgpr_kernarg_preload_length 0
		.amdhsa_user_sgpr_kernarg_preload_offset 0
		.amdhsa_user_sgpr_private_segment_size 0
		.amdhsa_uses_dynamic_stack 0
		.amdhsa_enable_private_segment 0
		.amdhsa_system_sgpr_workgroup_id_x 1
		.amdhsa_system_sgpr_workgroup_id_y 0
		.amdhsa_system_sgpr_workgroup_id_z 0
		.amdhsa_system_sgpr_workgroup_info 0
		.amdhsa_system_vgpr_workitem_id 0
		.amdhsa_next_free_vgpr 16
		.amdhsa_next_free_sgpr 9
		.amdhsa_accum_offset 16
		.amdhsa_reserve_vcc 1
		.amdhsa_float_round_mode_32 0
		.amdhsa_float_round_mode_16_64 0
		.amdhsa_float_denorm_mode_32 3
		.amdhsa_float_denorm_mode_16_64 3
		.amdhsa_dx10_clamp 1
		.amdhsa_ieee_mode 1
		.amdhsa_fp16_overflow 0
		.amdhsa_tg_split 0
		.amdhsa_exception_fp_ieee_invalid_op 0
		.amdhsa_exception_fp_denorm_src 0
		.amdhsa_exception_fp_ieee_div_zero 0
		.amdhsa_exception_fp_ieee_overflow 0
		.amdhsa_exception_fp_ieee_underflow 0
		.amdhsa_exception_fp_ieee_inexact 0
		.amdhsa_exception_int_div_zero 0
	.end_amdhsa_kernel
	.section	.text._Z6kernelI14inclusive_scanILN6hipcub18BlockScanAlgorithmE1EEhLj256ELj1ELj100EEvPKT0_PS4_S4_,"axG",@progbits,_Z6kernelI14inclusive_scanILN6hipcub18BlockScanAlgorithmE1EEhLj256ELj1ELj100EEvPKT0_PS4_S4_,comdat
.Lfunc_end42:
	.size	_Z6kernelI14inclusive_scanILN6hipcub18BlockScanAlgorithmE1EEhLj256ELj1ELj100EEvPKT0_PS4_S4_, .Lfunc_end42-_Z6kernelI14inclusive_scanILN6hipcub18BlockScanAlgorithmE1EEhLj256ELj1ELj100EEvPKT0_PS4_S4_
                                        ; -- End function
	.section	.AMDGPU.csdata,"",@progbits
; Kernel info:
; codeLenInByte = 600
; NumSgprs: 15
; NumVgprs: 16
; NumAgprs: 0
; TotalNumVgprs: 16
; ScratchSize: 0
; MemoryBound: 0
; FloatMode: 240
; IeeeMode: 1
; LDSByteSize: 264 bytes/workgroup (compile time only)
; SGPRBlocks: 1
; VGPRBlocks: 1
; NumSGPRsForWavesPerEU: 15
; NumVGPRsForWavesPerEU: 16
; AccumOffset: 16
; Occupancy: 8
; WaveLimiterHint : 0
; COMPUTE_PGM_RSRC2:SCRATCH_EN: 0
; COMPUTE_PGM_RSRC2:USER_SGPR: 2
; COMPUTE_PGM_RSRC2:TRAP_HANDLER: 0
; COMPUTE_PGM_RSRC2:TGID_X_EN: 1
; COMPUTE_PGM_RSRC2:TGID_Y_EN: 0
; COMPUTE_PGM_RSRC2:TGID_Z_EN: 0
; COMPUTE_PGM_RSRC2:TIDIG_COMP_CNT: 0
; COMPUTE_PGM_RSRC3_GFX90A:ACCUM_OFFSET: 3
; COMPUTE_PGM_RSRC3_GFX90A:TG_SPLIT: 0
	.section	.text._Z6kernelI14inclusive_scanILN6hipcub18BlockScanAlgorithmE1EEhLj256ELj3ELj100EEvPKT0_PS4_S4_,"axG",@progbits,_Z6kernelI14inclusive_scanILN6hipcub18BlockScanAlgorithmE1EEhLj256ELj3ELj100EEvPKT0_PS4_S4_,comdat
	.protected	_Z6kernelI14inclusive_scanILN6hipcub18BlockScanAlgorithmE1EEhLj256ELj3ELj100EEvPKT0_PS4_S4_ ; -- Begin function _Z6kernelI14inclusive_scanILN6hipcub18BlockScanAlgorithmE1EEhLj256ELj3ELj100EEvPKT0_PS4_S4_
	.globl	_Z6kernelI14inclusive_scanILN6hipcub18BlockScanAlgorithmE1EEhLj256ELj3ELj100EEvPKT0_PS4_S4_
	.p2align	8
	.type	_Z6kernelI14inclusive_scanILN6hipcub18BlockScanAlgorithmE1EEhLj256ELj3ELj100EEvPKT0_PS4_S4_,@function
_Z6kernelI14inclusive_scanILN6hipcub18BlockScanAlgorithmE1EEhLj256ELj3ELj100EEvPKT0_PS4_S4_: ; @_Z6kernelI14inclusive_scanILN6hipcub18BlockScanAlgorithmE1EEhLj256ELj3ELj100EEvPKT0_PS4_S4_
; %bb.0:
	s_load_dword s3, s[0:1], 0x24
	s_load_dwordx4 s[4:7], s[0:1], 0x0
	v_add_u32_e32 v12, -1, v0
	v_mov_b32_e32 v3, 0
	v_lshrrev_b32_e32 v8, 5, v0
	s_waitcnt lgkmcnt(0)
	s_and_b32 s0, s3, 0xffff
	s_mul_i32 s2, s2, s0
	v_add_u32_e32 v1, s2, v0
	v_lshl_add_u32 v2, v1, 1, v1
	v_add_u32_e32 v4, 1, v2
	global_load_ubyte v13, v4, s[4:5]
	global_load_ubyte v14, v2, s[4:5]
	v_add_u32_e32 v6, 2, v2
	global_load_ubyte v15, v6, s[4:5]
	v_mbcnt_lo_u32_b32 v1, -1, 0
	v_lshrrev_b32_e32 v9, 3, v0
	v_mbcnt_hi_u32_b32 v1, -1, v1
	v_lshrrev_b32_e32 v16, 5, v12
	s_movk_i32 s10, 0x64
	v_mov_b32_e32 v5, v3
	v_mov_b32_e32 v7, v3
	v_cmp_gt_u32_e32 vcc, 64, v0
	v_cmp_eq_u32_e64 s[0:1], 0, v0
	v_cmp_ne_u32_e64 s[2:3], 0, v0
	v_add_u32_e32 v8, v8, v0
	v_lshl_add_u32 v0, v0, 2, v9
	v_and_b32_e32 v9, 15, v1
	v_and_b32_e32 v10, 16, v1
	v_add_u32_e32 v11, -1, v1
	v_add_u32_e32 v12, v16, v12
	s_waitcnt vmcnt(2)
	v_lshlrev_b16_e32 v13, 8, v13
	s_waitcnt vmcnt(1)
	v_or_b32_e32 v13, v14, v13
	v_and_b32_e32 v13, 0xffff, v13
	s_waitcnt vmcnt(0)
	v_lshl_or_b32 v14, v15, 16, v13
	v_and_b32_e32 v13, 64, v1
	s_branch .LBB43_2
.LBB43_1:                               ;   in Loop: Header=BB43_2 Depth=1
	s_or_b64 exec, exec, s[4:5]
	s_waitcnt lgkmcnt(0)
	v_add_u16_e32 v17, v16, v14
	v_add_u16_e32 v16, v17, v15
	v_add_u16_sdwa v15, v16, v14 dst_sel:DWORD dst_unused:UNUSED_PAD src0_sel:DWORD src1_sel:WORD_1
	v_lshlrev_b16_e32 v14, 8, v16
	v_and_b32_e32 v18, 0xff, v15
	v_or_b32_sdwa v14, v17, v14 dst_sel:DWORD dst_unused:UNUSED_PAD src0_sel:BYTE_0 src1_sel:DWORD
	v_lshlrev_b32_e32 v18, 16, v18
	s_add_i32 s10, s10, -1
	s_cmp_lg_u32 s10, 0
	v_or_b32_sdwa v14, v14, v18 dst_sel:DWORD dst_unused:UNUSED_PAD src0_sel:WORD_0 src1_sel:DWORD
	s_cbranch_scc0 .LBB43_6
.LBB43_2:                               ; =>This Inner Loop Header: Depth=1
	v_lshrrev_b32_e32 v15, 8, v14
	v_add_u16_e32 v16, v15, v14
	v_add_u16_sdwa v16, v16, v14 dst_sel:DWORD dst_unused:UNUSED_PAD src0_sel:DWORD src1_sel:WORD_1
	ds_write_b8 v8, v16
	s_waitcnt lgkmcnt(0)
	s_barrier
	s_and_saveexec_b64 s[8:9], vcc
	s_cbranch_execz .LBB43_4
; %bb.3:                                ;   in Loop: Header=BB43_2 Depth=1
	ds_read_u8 v17, v0
	ds_read_u8 v18, v0 offset:1
	ds_read_u8 v19, v0 offset:2
	;; [unrolled: 1-line block ×3, first 2 shown]
	v_cmp_ne_u32_e64 s[4:5], 0, v9
	s_waitcnt lgkmcnt(2)
	v_add_u16_e32 v21, v18, v17
	s_waitcnt lgkmcnt(1)
	v_add_u16_e32 v21, v21, v19
	;; [unrolled: 2-line block ×3, first 2 shown]
	v_and_b32_e32 v22, 0xff, v21
	s_nop 1
	v_mov_b32_dpp v22, v22 row_shr:1 row_mask:0xf bank_mask:0xf
	v_cndmask_b32_e64 v22, 0, v22, s[4:5]
	v_add_u16_e32 v21, v22, v21
	v_and_b32_e32 v22, 0xff, v21
	v_cmp_lt_u32_e64 s[4:5], 1, v9
	s_nop 0
	v_mov_b32_dpp v22, v22 row_shr:2 row_mask:0xf bank_mask:0xf
	v_cndmask_b32_e64 v22, 0, v22, s[4:5]
	v_add_u16_e32 v21, v21, v22
	v_and_b32_e32 v22, 0xff, v21
	v_cmp_lt_u32_e64 s[4:5], 3, v9
	;; [unrolled: 6-line block ×3, first 2 shown]
	s_nop 0
	v_mov_b32_dpp v22, v22 row_shr:8 row_mask:0xf bank_mask:0xf
	v_cndmask_b32_e64 v22, 0, v22, s[4:5]
	v_add_u16_e32 v21, v21, v22
	v_and_b32_e32 v22, 0xff, v21
	v_cmp_ne_u32_e64 s[4:5], 0, v10
	s_nop 0
	v_mov_b32_dpp v22, v22 row_bcast:15 row_mask:0xf bank_mask:0xf
	v_cndmask_b32_e64 v22, 0, v22, s[4:5]
	v_add_u16_e32 v21, v21, v22
	v_and_b32_e32 v22, 0xff, v21
	v_cmp_lt_u32_e64 s[4:5], 31, v1
	s_nop 0
	v_mov_b32_dpp v22, v22 row_bcast:31 row_mask:0xf bank_mask:0xf
	v_cndmask_b32_e64 v22, 0, v22, s[4:5]
	v_cmp_lt_i32_e64 s[4:5], v11, v13
	v_add_u16_e32 v21, v21, v22
	v_and_b32_e32 v21, 0xff, v21
	v_cndmask_b32_e64 v22, v11, v1, s[4:5]
	v_lshlrev_b32_e32 v22, 2, v22
	ds_bpermute_b32 v21, v22, v21
	s_waitcnt lgkmcnt(0)
	v_add_u16_e32 v17, v17, v21
	v_cndmask_b32_e64 v16, v17, v16, s[0:1]
	ds_write_b8 v0, v16
	v_add_u16_e32 v16, v16, v18
	ds_write_b8 v0, v16 offset:1
	v_add_u16_e32 v16, v16, v19
	ds_write_b8 v0, v16 offset:2
	;; [unrolled: 2-line block ×3, first 2 shown]
.LBB43_4:                               ;   in Loop: Header=BB43_2 Depth=1
	s_or_b64 exec, exec, s[8:9]
	v_mov_b32_e32 v16, 0
	s_waitcnt lgkmcnt(0)
	s_barrier
	s_and_saveexec_b64 s[4:5], s[2:3]
	s_cbranch_execz .LBB43_1
; %bb.5:                                ;   in Loop: Header=BB43_2 Depth=1
	ds_read_u8 v16, v12
	s_branch .LBB43_1
.LBB43_6:
	v_lshl_add_u64 v[0:1], s[6:7], 0, v[2:3]
	global_store_byte v[0:1], v17, off
	v_lshl_add_u64 v[0:1], s[6:7], 0, v[4:5]
	global_store_byte v[0:1], v16, off
	v_lshl_add_u64 v[0:1], s[6:7], 0, v[6:7]
	global_store_byte v[0:1], v15, off
	s_endpgm
	.section	.rodata,"a",@progbits
	.p2align	6, 0x0
	.amdhsa_kernel _Z6kernelI14inclusive_scanILN6hipcub18BlockScanAlgorithmE1EEhLj256ELj3ELj100EEvPKT0_PS4_S4_
		.amdhsa_group_segment_fixed_size 264
		.amdhsa_private_segment_fixed_size 0
		.amdhsa_kernarg_size 280
		.amdhsa_user_sgpr_count 2
		.amdhsa_user_sgpr_dispatch_ptr 0
		.amdhsa_user_sgpr_queue_ptr 0
		.amdhsa_user_sgpr_kernarg_segment_ptr 1
		.amdhsa_user_sgpr_dispatch_id 0
		.amdhsa_user_sgpr_kernarg_preload_length 0
		.amdhsa_user_sgpr_kernarg_preload_offset 0
		.amdhsa_user_sgpr_private_segment_size 0
		.amdhsa_uses_dynamic_stack 0
		.amdhsa_enable_private_segment 0
		.amdhsa_system_sgpr_workgroup_id_x 1
		.amdhsa_system_sgpr_workgroup_id_y 0
		.amdhsa_system_sgpr_workgroup_id_z 0
		.amdhsa_system_sgpr_workgroup_info 0
		.amdhsa_system_vgpr_workitem_id 0
		.amdhsa_next_free_vgpr 23
		.amdhsa_next_free_sgpr 11
		.amdhsa_accum_offset 24
		.amdhsa_reserve_vcc 1
		.amdhsa_float_round_mode_32 0
		.amdhsa_float_round_mode_16_64 0
		.amdhsa_float_denorm_mode_32 3
		.amdhsa_float_denorm_mode_16_64 3
		.amdhsa_dx10_clamp 1
		.amdhsa_ieee_mode 1
		.amdhsa_fp16_overflow 0
		.amdhsa_tg_split 0
		.amdhsa_exception_fp_ieee_invalid_op 0
		.amdhsa_exception_fp_denorm_src 0
		.amdhsa_exception_fp_ieee_div_zero 0
		.amdhsa_exception_fp_ieee_overflow 0
		.amdhsa_exception_fp_ieee_underflow 0
		.amdhsa_exception_fp_ieee_inexact 0
		.amdhsa_exception_int_div_zero 0
	.end_amdhsa_kernel
	.section	.text._Z6kernelI14inclusive_scanILN6hipcub18BlockScanAlgorithmE1EEhLj256ELj3ELj100EEvPKT0_PS4_S4_,"axG",@progbits,_Z6kernelI14inclusive_scanILN6hipcub18BlockScanAlgorithmE1EEhLj256ELj3ELj100EEvPKT0_PS4_S4_,comdat
.Lfunc_end43:
	.size	_Z6kernelI14inclusive_scanILN6hipcub18BlockScanAlgorithmE1EEhLj256ELj3ELj100EEvPKT0_PS4_S4_, .Lfunc_end43-_Z6kernelI14inclusive_scanILN6hipcub18BlockScanAlgorithmE1EEhLj256ELj3ELj100EEvPKT0_PS4_S4_
                                        ; -- End function
	.section	.AMDGPU.csdata,"",@progbits
; Kernel info:
; codeLenInByte = 804
; NumSgprs: 17
; NumVgprs: 23
; NumAgprs: 0
; TotalNumVgprs: 23
; ScratchSize: 0
; MemoryBound: 0
; FloatMode: 240
; IeeeMode: 1
; LDSByteSize: 264 bytes/workgroup (compile time only)
; SGPRBlocks: 2
; VGPRBlocks: 2
; NumSGPRsForWavesPerEU: 17
; NumVGPRsForWavesPerEU: 23
; AccumOffset: 24
; Occupancy: 8
; WaveLimiterHint : 0
; COMPUTE_PGM_RSRC2:SCRATCH_EN: 0
; COMPUTE_PGM_RSRC2:USER_SGPR: 2
; COMPUTE_PGM_RSRC2:TRAP_HANDLER: 0
; COMPUTE_PGM_RSRC2:TGID_X_EN: 1
; COMPUTE_PGM_RSRC2:TGID_Y_EN: 0
; COMPUTE_PGM_RSRC2:TGID_Z_EN: 0
; COMPUTE_PGM_RSRC2:TIDIG_COMP_CNT: 0
; COMPUTE_PGM_RSRC3_GFX90A:ACCUM_OFFSET: 5
; COMPUTE_PGM_RSRC3_GFX90A:TG_SPLIT: 0
	.section	.text._Z6kernelI14inclusive_scanILN6hipcub18BlockScanAlgorithmE1EEhLj256ELj4ELj100EEvPKT0_PS4_S4_,"axG",@progbits,_Z6kernelI14inclusive_scanILN6hipcub18BlockScanAlgorithmE1EEhLj256ELj4ELj100EEvPKT0_PS4_S4_,comdat
	.protected	_Z6kernelI14inclusive_scanILN6hipcub18BlockScanAlgorithmE1EEhLj256ELj4ELj100EEvPKT0_PS4_S4_ ; -- Begin function _Z6kernelI14inclusive_scanILN6hipcub18BlockScanAlgorithmE1EEhLj256ELj4ELj100EEvPKT0_PS4_S4_
	.globl	_Z6kernelI14inclusive_scanILN6hipcub18BlockScanAlgorithmE1EEhLj256ELj4ELj100EEvPKT0_PS4_S4_
	.p2align	8
	.type	_Z6kernelI14inclusive_scanILN6hipcub18BlockScanAlgorithmE1EEhLj256ELj4ELj100EEvPKT0_PS4_S4_,@function
_Z6kernelI14inclusive_scanILN6hipcub18BlockScanAlgorithmE1EEhLj256ELj4ELj100EEvPKT0_PS4_S4_: ; @_Z6kernelI14inclusive_scanILN6hipcub18BlockScanAlgorithmE1EEhLj256ELj4ELj100EEvPKT0_PS4_S4_
; %bb.0:
	s_load_dword s3, s[0:1], 0x24
	s_load_dwordx4 s[4:7], s[0:1], 0x0
	v_lshrrev_b32_e32 v4, 5, v0
	v_lshrrev_b32_e32 v5, 3, v0
	v_add_u32_e32 v4, v4, v0
	s_waitcnt lgkmcnt(0)
	s_and_b32 s0, s3, 0xffff
	s_mul_i32 s2, s2, s0
	v_add_lshl_u32 v2, s2, v0, 2
	global_load_dword v1, v2, s[4:5]
	v_cmp_gt_u32_e32 vcc, 64, v0
	v_cmp_eq_u32_e64 s[0:1], 0, v0
	v_cmp_ne_u32_e64 s[2:3], 0, v0
	v_lshl_add_u32 v5, v0, 2, v5
	v_add_u32_e32 v0, -1, v0
	v_lshrrev_b32_e32 v6, 5, v0
	v_add_u32_e32 v0, v6, v0
	v_mbcnt_lo_u32_b32 v6, -1, 0
	v_mbcnt_hi_u32_b32 v6, -1, v6
	v_mov_b32_e32 v3, 0
	s_movk_i32 s10, 0x64
	v_and_b32_e32 v7, 15, v6
	v_and_b32_e32 v8, 16, v6
	v_add_u32_e32 v9, -1, v6
	v_and_b32_e32 v10, 64, v6
	s_branch .LBB44_2
.LBB44_1:                               ;   in Loop: Header=BB44_2 Depth=1
	s_or_b64 exec, exec, s[4:5]
	s_waitcnt lgkmcnt(0)
	v_add_u16_e32 v12, v12, v1
	v_add_u16_e32 v11, v12, v11
	v_add_u16_sdwa v13, v11, v1 dst_sel:DWORD dst_unused:UNUSED_PAD src0_sel:DWORD src1_sel:WORD_1
	v_add_u16_sdwa v1, v13, v1 dst_sel:DWORD dst_unused:UNUSED_PAD src0_sel:DWORD src1_sel:BYTE_3
	v_lshlrev_b16_e32 v11, 8, v11
	v_lshlrev_b16_e32 v1, 8, v1
	v_or_b32_sdwa v11, v12, v11 dst_sel:DWORD dst_unused:UNUSED_PAD src0_sel:BYTE_0 src1_sel:DWORD
	v_or_b32_sdwa v1, v13, v1 dst_sel:WORD_1 dst_unused:UNUSED_PAD src0_sel:BYTE_0 src1_sel:DWORD
	s_add_i32 s10, s10, -1
	s_cmp_lg_u32 s10, 0
	v_or_b32_sdwa v1, v11, v1 dst_sel:DWORD dst_unused:UNUSED_PAD src0_sel:WORD_0 src1_sel:DWORD
	s_cbranch_scc0 .LBB44_6
.LBB44_2:                               ; =>This Inner Loop Header: Depth=1
	s_waitcnt vmcnt(0)
	v_lshrrev_b32_e32 v11, 8, v1
	v_add_u16_e32 v12, v11, v1
	v_add_u16_sdwa v12, v12, v1 dst_sel:DWORD dst_unused:UNUSED_PAD src0_sel:DWORD src1_sel:WORD_1
	v_add_u16_sdwa v12, v12, v1 dst_sel:DWORD dst_unused:UNUSED_PAD src0_sel:DWORD src1_sel:BYTE_3
	ds_write_b8 v4, v12
	s_waitcnt lgkmcnt(0)
	s_barrier
	s_and_saveexec_b64 s[8:9], vcc
	s_cbranch_execz .LBB44_4
; %bb.3:                                ;   in Loop: Header=BB44_2 Depth=1
	ds_read_u8 v13, v5
	ds_read_u8 v14, v5 offset:1
	ds_read_u8 v15, v5 offset:2
	;; [unrolled: 1-line block ×3, first 2 shown]
	v_cmp_ne_u32_e64 s[4:5], 0, v7
	s_waitcnt lgkmcnt(2)
	v_add_u16_e32 v17, v14, v13
	s_waitcnt lgkmcnt(1)
	v_add_u16_e32 v17, v17, v15
	s_waitcnt lgkmcnt(0)
	v_add_u16_e32 v17, v17, v16
	v_and_b32_e32 v18, 0xff, v17
	s_nop 1
	v_mov_b32_dpp v18, v18 row_shr:1 row_mask:0xf bank_mask:0xf
	v_cndmask_b32_e64 v18, 0, v18, s[4:5]
	v_add_u16_e32 v17, v18, v17
	v_and_b32_e32 v18, 0xff, v17
	v_cmp_lt_u32_e64 s[4:5], 1, v7
	s_nop 0
	v_mov_b32_dpp v18, v18 row_shr:2 row_mask:0xf bank_mask:0xf
	v_cndmask_b32_e64 v18, 0, v18, s[4:5]
	v_add_u16_e32 v17, v17, v18
	v_and_b32_e32 v18, 0xff, v17
	v_cmp_lt_u32_e64 s[4:5], 3, v7
	;; [unrolled: 6-line block ×3, first 2 shown]
	s_nop 0
	v_mov_b32_dpp v18, v18 row_shr:8 row_mask:0xf bank_mask:0xf
	v_cndmask_b32_e64 v18, 0, v18, s[4:5]
	v_add_u16_e32 v17, v17, v18
	v_and_b32_e32 v18, 0xff, v17
	v_cmp_ne_u32_e64 s[4:5], 0, v8
	s_nop 0
	v_mov_b32_dpp v18, v18 row_bcast:15 row_mask:0xf bank_mask:0xf
	v_cndmask_b32_e64 v18, 0, v18, s[4:5]
	v_add_u16_e32 v17, v17, v18
	v_and_b32_e32 v18, 0xff, v17
	v_cmp_lt_u32_e64 s[4:5], 31, v6
	s_nop 0
	v_mov_b32_dpp v18, v18 row_bcast:31 row_mask:0xf bank_mask:0xf
	v_cndmask_b32_e64 v18, 0, v18, s[4:5]
	v_cmp_lt_i32_e64 s[4:5], v9, v10
	v_add_u16_e32 v17, v17, v18
	v_and_b32_e32 v17, 0xff, v17
	v_cndmask_b32_e64 v18, v9, v6, s[4:5]
	v_lshlrev_b32_e32 v18, 2, v18
	ds_bpermute_b32 v17, v18, v17
	s_waitcnt lgkmcnt(0)
	v_add_u16_e32 v13, v13, v17
	v_cndmask_b32_e64 v12, v13, v12, s[0:1]
	ds_write_b8 v5, v12
	v_add_u16_e32 v12, v12, v14
	ds_write_b8 v5, v12 offset:1
	v_add_u16_e32 v12, v12, v15
	ds_write_b8 v5, v12 offset:2
	;; [unrolled: 2-line block ×3, first 2 shown]
.LBB44_4:                               ;   in Loop: Header=BB44_2 Depth=1
	s_or_b64 exec, exec, s[8:9]
	v_mov_b32_e32 v12, 0
	s_waitcnt lgkmcnt(0)
	s_barrier
	s_and_saveexec_b64 s[4:5], s[2:3]
	s_cbranch_execz .LBB44_1
; %bb.5:                                ;   in Loop: Header=BB44_2 Depth=1
	ds_read_u8 v12, v0
	s_branch .LBB44_1
.LBB44_6:
	v_lshl_add_u64 v[2:3], s[6:7], 0, v[2:3]
	global_store_dword v[2:3], v1, off
	s_endpgm
	.section	.rodata,"a",@progbits
	.p2align	6, 0x0
	.amdhsa_kernel _Z6kernelI14inclusive_scanILN6hipcub18BlockScanAlgorithmE1EEhLj256ELj4ELj100EEvPKT0_PS4_S4_
		.amdhsa_group_segment_fixed_size 264
		.amdhsa_private_segment_fixed_size 0
		.amdhsa_kernarg_size 280
		.amdhsa_user_sgpr_count 2
		.amdhsa_user_sgpr_dispatch_ptr 0
		.amdhsa_user_sgpr_queue_ptr 0
		.amdhsa_user_sgpr_kernarg_segment_ptr 1
		.amdhsa_user_sgpr_dispatch_id 0
		.amdhsa_user_sgpr_kernarg_preload_length 0
		.amdhsa_user_sgpr_kernarg_preload_offset 0
		.amdhsa_user_sgpr_private_segment_size 0
		.amdhsa_uses_dynamic_stack 0
		.amdhsa_enable_private_segment 0
		.amdhsa_system_sgpr_workgroup_id_x 1
		.amdhsa_system_sgpr_workgroup_id_y 0
		.amdhsa_system_sgpr_workgroup_id_z 0
		.amdhsa_system_sgpr_workgroup_info 0
		.amdhsa_system_vgpr_workitem_id 0
		.amdhsa_next_free_vgpr 19
		.amdhsa_next_free_sgpr 11
		.amdhsa_accum_offset 20
		.amdhsa_reserve_vcc 1
		.amdhsa_float_round_mode_32 0
		.amdhsa_float_round_mode_16_64 0
		.amdhsa_float_denorm_mode_32 3
		.amdhsa_float_denorm_mode_16_64 3
		.amdhsa_dx10_clamp 1
		.amdhsa_ieee_mode 1
		.amdhsa_fp16_overflow 0
		.amdhsa_tg_split 0
		.amdhsa_exception_fp_ieee_invalid_op 0
		.amdhsa_exception_fp_denorm_src 0
		.amdhsa_exception_fp_ieee_div_zero 0
		.amdhsa_exception_fp_ieee_overflow 0
		.amdhsa_exception_fp_ieee_underflow 0
		.amdhsa_exception_fp_ieee_inexact 0
		.amdhsa_exception_int_div_zero 0
	.end_amdhsa_kernel
	.section	.text._Z6kernelI14inclusive_scanILN6hipcub18BlockScanAlgorithmE1EEhLj256ELj4ELj100EEvPKT0_PS4_S4_,"axG",@progbits,_Z6kernelI14inclusive_scanILN6hipcub18BlockScanAlgorithmE1EEhLj256ELj4ELj100EEvPKT0_PS4_S4_,comdat
.Lfunc_end44:
	.size	_Z6kernelI14inclusive_scanILN6hipcub18BlockScanAlgorithmE1EEhLj256ELj4ELj100EEvPKT0_PS4_S4_, .Lfunc_end44-_Z6kernelI14inclusive_scanILN6hipcub18BlockScanAlgorithmE1EEhLj256ELj4ELj100EEvPKT0_PS4_S4_
                                        ; -- End function
	.section	.AMDGPU.csdata,"",@progbits
; Kernel info:
; codeLenInByte = 720
; NumSgprs: 17
; NumVgprs: 19
; NumAgprs: 0
; TotalNumVgprs: 19
; ScratchSize: 0
; MemoryBound: 0
; FloatMode: 240
; IeeeMode: 1
; LDSByteSize: 264 bytes/workgroup (compile time only)
; SGPRBlocks: 2
; VGPRBlocks: 2
; NumSGPRsForWavesPerEU: 17
; NumVGPRsForWavesPerEU: 19
; AccumOffset: 20
; Occupancy: 8
; WaveLimiterHint : 0
; COMPUTE_PGM_RSRC2:SCRATCH_EN: 0
; COMPUTE_PGM_RSRC2:USER_SGPR: 2
; COMPUTE_PGM_RSRC2:TRAP_HANDLER: 0
; COMPUTE_PGM_RSRC2:TGID_X_EN: 1
; COMPUTE_PGM_RSRC2:TGID_Y_EN: 0
; COMPUTE_PGM_RSRC2:TGID_Z_EN: 0
; COMPUTE_PGM_RSRC2:TIDIG_COMP_CNT: 0
; COMPUTE_PGM_RSRC3_GFX90A:ACCUM_OFFSET: 4
; COMPUTE_PGM_RSRC3_GFX90A:TG_SPLIT: 0
	.section	.text._Z6kernelI14inclusive_scanILN6hipcub18BlockScanAlgorithmE1EEhLj256ELj8ELj100EEvPKT0_PS4_S4_,"axG",@progbits,_Z6kernelI14inclusive_scanILN6hipcub18BlockScanAlgorithmE1EEhLj256ELj8ELj100EEvPKT0_PS4_S4_,comdat
	.protected	_Z6kernelI14inclusive_scanILN6hipcub18BlockScanAlgorithmE1EEhLj256ELj8ELj100EEvPKT0_PS4_S4_ ; -- Begin function _Z6kernelI14inclusive_scanILN6hipcub18BlockScanAlgorithmE1EEhLj256ELj8ELj100EEvPKT0_PS4_S4_
	.globl	_Z6kernelI14inclusive_scanILN6hipcub18BlockScanAlgorithmE1EEhLj256ELj8ELj100EEvPKT0_PS4_S4_
	.p2align	8
	.type	_Z6kernelI14inclusive_scanILN6hipcub18BlockScanAlgorithmE1EEhLj256ELj8ELj100EEvPKT0_PS4_S4_,@function
_Z6kernelI14inclusive_scanILN6hipcub18BlockScanAlgorithmE1EEhLj256ELj8ELj100EEvPKT0_PS4_S4_: ; @_Z6kernelI14inclusive_scanILN6hipcub18BlockScanAlgorithmE1EEhLj256ELj8ELj100EEvPKT0_PS4_S4_
; %bb.0:
	s_load_dword s3, s[0:1], 0x24
	s_load_dwordx4 s[4:7], s[0:1], 0x0
	v_lshrrev_b32_e32 v1, 5, v0
	v_lshrrev_b32_e32 v6, 3, v0
	v_add_u32_e32 v1, v1, v0
	s_waitcnt lgkmcnt(0)
	s_and_b32 s0, s3, 0xffff
	s_mul_i32 s2, s2, s0
	v_add_lshl_u32 v2, s2, v0, 3
	global_load_dwordx2 v[4:5], v2, s[4:5]
	v_cmp_gt_u32_e32 vcc, 64, v0
	v_cmp_eq_u32_e64 s[0:1], 0, v0
	v_cmp_ne_u32_e64 s[2:3], 0, v0
	v_lshl_add_u32 v6, v0, 2, v6
	v_add_u32_e32 v0, -1, v0
	v_lshrrev_b32_e32 v7, 5, v0
	v_add_u32_e32 v0, v7, v0
	v_mbcnt_lo_u32_b32 v7, -1, 0
	v_mbcnt_hi_u32_b32 v7, -1, v7
	v_mov_b32_e32 v3, 0
	s_movk_i32 s10, 0x64
	v_and_b32_e32 v8, 15, v7
	v_and_b32_e32 v9, 16, v7
	v_add_u32_e32 v10, -1, v7
	v_and_b32_e32 v11, 64, v7
	s_branch .LBB45_2
.LBB45_1:                               ;   in Loop: Header=BB45_2 Depth=1
	s_or_b64 exec, exec, s[4:5]
	s_waitcnt lgkmcnt(0)
	v_add_u16_e32 v14, v14, v4
	v_add_u16_e32 v12, v14, v12
	v_add_u16_sdwa v15, v12, v4 dst_sel:DWORD dst_unused:UNUSED_PAD src0_sel:DWORD src1_sel:WORD_1
	v_add_u16_sdwa v4, v15, v4 dst_sel:DWORD dst_unused:UNUSED_PAD src0_sel:DWORD src1_sel:BYTE_3
	v_add_u16_e32 v16, v4, v5
	v_add_u16_e32 v13, v16, v13
	v_add_u16_sdwa v17, v13, v5 dst_sel:DWORD dst_unused:UNUSED_PAD src0_sel:DWORD src1_sel:WORD_1
	v_lshlrev_b16_e32 v12, 8, v12
	v_lshlrev_b16_e32 v4, 8, v4
	v_add_u16_sdwa v5, v17, v5 dst_sel:DWORD dst_unused:UNUSED_PAD src0_sel:DWORD src1_sel:BYTE_3
	v_or_b32_sdwa v12, v14, v12 dst_sel:DWORD dst_unused:UNUSED_PAD src0_sel:BYTE_0 src1_sel:DWORD
	v_or_b32_sdwa v4, v15, v4 dst_sel:WORD_1 dst_unused:UNUSED_PAD src0_sel:BYTE_0 src1_sel:DWORD
	v_lshlrev_b16_e32 v5, 8, v5
	v_or_b32_sdwa v4, v12, v4 dst_sel:DWORD dst_unused:UNUSED_PAD src0_sel:WORD_0 src1_sel:DWORD
	v_lshlrev_b16_e32 v12, 8, v13
	v_or_b32_sdwa v12, v16, v12 dst_sel:DWORD dst_unused:UNUSED_PAD src0_sel:BYTE_0 src1_sel:DWORD
	v_or_b32_sdwa v5, v17, v5 dst_sel:WORD_1 dst_unused:UNUSED_PAD src0_sel:BYTE_0 src1_sel:DWORD
	s_add_i32 s10, s10, -1
	s_cmp_lg_u32 s10, 0
	v_or_b32_sdwa v5, v12, v5 dst_sel:DWORD dst_unused:UNUSED_PAD src0_sel:WORD_0 src1_sel:DWORD
	s_cbranch_scc0 .LBB45_6
.LBB45_2:                               ; =>This Inner Loop Header: Depth=1
	s_waitcnt vmcnt(0)
	v_lshrrev_b32_e32 v12, 8, v4
	v_add_u16_e32 v13, v12, v4
	v_add_u16_sdwa v13, v13, v4 dst_sel:DWORD dst_unused:UNUSED_PAD src0_sel:DWORD src1_sel:WORD_1
	v_add_u16_sdwa v13, v13, v4 dst_sel:DWORD dst_unused:UNUSED_PAD src0_sel:DWORD src1_sel:BYTE_3
	v_add_u16_e32 v14, v13, v5
	v_lshrrev_b32_e32 v13, 8, v5
	v_add_u16_e32 v14, v14, v13
	v_add_u16_sdwa v14, v14, v5 dst_sel:DWORD dst_unused:UNUSED_PAD src0_sel:DWORD src1_sel:WORD_1
	v_add_u16_sdwa v14, v14, v5 dst_sel:DWORD dst_unused:UNUSED_PAD src0_sel:DWORD src1_sel:BYTE_3
	ds_write_b8 v1, v14
	s_waitcnt lgkmcnt(0)
	s_barrier
	s_and_saveexec_b64 s[8:9], vcc
	s_cbranch_execz .LBB45_4
; %bb.3:                                ;   in Loop: Header=BB45_2 Depth=1
	ds_read_u8 v15, v6
	ds_read_u8 v16, v6 offset:1
	ds_read_u8 v17, v6 offset:2
	;; [unrolled: 1-line block ×3, first 2 shown]
	v_cmp_ne_u32_e64 s[4:5], 0, v8
	s_waitcnt lgkmcnt(2)
	v_add_u16_e32 v19, v16, v15
	s_waitcnt lgkmcnt(1)
	v_add_u16_e32 v19, v19, v17
	;; [unrolled: 2-line block ×3, first 2 shown]
	v_and_b32_e32 v20, 0xff, v19
	s_nop 1
	v_mov_b32_dpp v20, v20 row_shr:1 row_mask:0xf bank_mask:0xf
	v_cndmask_b32_e64 v20, 0, v20, s[4:5]
	v_add_u16_e32 v19, v20, v19
	v_and_b32_e32 v20, 0xff, v19
	v_cmp_lt_u32_e64 s[4:5], 1, v8
	s_nop 0
	v_mov_b32_dpp v20, v20 row_shr:2 row_mask:0xf bank_mask:0xf
	v_cndmask_b32_e64 v20, 0, v20, s[4:5]
	v_add_u16_e32 v19, v19, v20
	v_and_b32_e32 v20, 0xff, v19
	v_cmp_lt_u32_e64 s[4:5], 3, v8
	;; [unrolled: 6-line block ×3, first 2 shown]
	s_nop 0
	v_mov_b32_dpp v20, v20 row_shr:8 row_mask:0xf bank_mask:0xf
	v_cndmask_b32_e64 v20, 0, v20, s[4:5]
	v_add_u16_e32 v19, v19, v20
	v_and_b32_e32 v20, 0xff, v19
	v_cmp_ne_u32_e64 s[4:5], 0, v9
	s_nop 0
	v_mov_b32_dpp v20, v20 row_bcast:15 row_mask:0xf bank_mask:0xf
	v_cndmask_b32_e64 v20, 0, v20, s[4:5]
	v_add_u16_e32 v19, v19, v20
	v_and_b32_e32 v20, 0xff, v19
	v_cmp_lt_u32_e64 s[4:5], 31, v7
	s_nop 0
	v_mov_b32_dpp v20, v20 row_bcast:31 row_mask:0xf bank_mask:0xf
	v_cndmask_b32_e64 v20, 0, v20, s[4:5]
	v_cmp_lt_i32_e64 s[4:5], v10, v11
	v_add_u16_e32 v19, v19, v20
	v_and_b32_e32 v19, 0xff, v19
	v_cndmask_b32_e64 v20, v10, v7, s[4:5]
	v_lshlrev_b32_e32 v20, 2, v20
	ds_bpermute_b32 v19, v20, v19
	s_waitcnt lgkmcnt(0)
	v_add_u16_e32 v15, v15, v19
	v_cndmask_b32_e64 v14, v15, v14, s[0:1]
	ds_write_b8 v6, v14
	v_add_u16_e32 v14, v14, v16
	ds_write_b8 v6, v14 offset:1
	v_add_u16_e32 v14, v14, v17
	ds_write_b8 v6, v14 offset:2
	;; [unrolled: 2-line block ×3, first 2 shown]
.LBB45_4:                               ;   in Loop: Header=BB45_2 Depth=1
	s_or_b64 exec, exec, s[8:9]
	v_mov_b32_e32 v14, 0
	s_waitcnt lgkmcnt(0)
	s_barrier
	s_and_saveexec_b64 s[4:5], s[2:3]
	s_cbranch_execz .LBB45_1
; %bb.5:                                ;   in Loop: Header=BB45_2 Depth=1
	ds_read_u8 v14, v0
	s_branch .LBB45_1
.LBB45_6:
	v_lshl_add_u64 v[0:1], s[6:7], 0, v[2:3]
	global_store_dwordx2 v[0:1], v[4:5], off
	s_endpgm
	.section	.rodata,"a",@progbits
	.p2align	6, 0x0
	.amdhsa_kernel _Z6kernelI14inclusive_scanILN6hipcub18BlockScanAlgorithmE1EEhLj256ELj8ELj100EEvPKT0_PS4_S4_
		.amdhsa_group_segment_fixed_size 264
		.amdhsa_private_segment_fixed_size 0
		.amdhsa_kernarg_size 280
		.amdhsa_user_sgpr_count 2
		.amdhsa_user_sgpr_dispatch_ptr 0
		.amdhsa_user_sgpr_queue_ptr 0
		.amdhsa_user_sgpr_kernarg_segment_ptr 1
		.amdhsa_user_sgpr_dispatch_id 0
		.amdhsa_user_sgpr_kernarg_preload_length 0
		.amdhsa_user_sgpr_kernarg_preload_offset 0
		.amdhsa_user_sgpr_private_segment_size 0
		.amdhsa_uses_dynamic_stack 0
		.amdhsa_enable_private_segment 0
		.amdhsa_system_sgpr_workgroup_id_x 1
		.amdhsa_system_sgpr_workgroup_id_y 0
		.amdhsa_system_sgpr_workgroup_id_z 0
		.amdhsa_system_sgpr_workgroup_info 0
		.amdhsa_system_vgpr_workitem_id 0
		.amdhsa_next_free_vgpr 21
		.amdhsa_next_free_sgpr 11
		.amdhsa_accum_offset 24
		.amdhsa_reserve_vcc 1
		.amdhsa_float_round_mode_32 0
		.amdhsa_float_round_mode_16_64 0
		.amdhsa_float_denorm_mode_32 3
		.amdhsa_float_denorm_mode_16_64 3
		.amdhsa_dx10_clamp 1
		.amdhsa_ieee_mode 1
		.amdhsa_fp16_overflow 0
		.amdhsa_tg_split 0
		.amdhsa_exception_fp_ieee_invalid_op 0
		.amdhsa_exception_fp_denorm_src 0
		.amdhsa_exception_fp_ieee_div_zero 0
		.amdhsa_exception_fp_ieee_overflow 0
		.amdhsa_exception_fp_ieee_underflow 0
		.amdhsa_exception_fp_ieee_inexact 0
		.amdhsa_exception_int_div_zero 0
	.end_amdhsa_kernel
	.section	.text._Z6kernelI14inclusive_scanILN6hipcub18BlockScanAlgorithmE1EEhLj256ELj8ELj100EEvPKT0_PS4_S4_,"axG",@progbits,_Z6kernelI14inclusive_scanILN6hipcub18BlockScanAlgorithmE1EEhLj256ELj8ELj100EEvPKT0_PS4_S4_,comdat
.Lfunc_end45:
	.size	_Z6kernelI14inclusive_scanILN6hipcub18BlockScanAlgorithmE1EEhLj256ELj8ELj100EEvPKT0_PS4_S4_, .Lfunc_end45-_Z6kernelI14inclusive_scanILN6hipcub18BlockScanAlgorithmE1EEhLj256ELj8ELj100EEvPKT0_PS4_S4_
                                        ; -- End function
	.section	.AMDGPU.csdata,"",@progbits
; Kernel info:
; codeLenInByte = 804
; NumSgprs: 17
; NumVgprs: 21
; NumAgprs: 0
; TotalNumVgprs: 21
; ScratchSize: 0
; MemoryBound: 0
; FloatMode: 240
; IeeeMode: 1
; LDSByteSize: 264 bytes/workgroup (compile time only)
; SGPRBlocks: 2
; VGPRBlocks: 2
; NumSGPRsForWavesPerEU: 17
; NumVGPRsForWavesPerEU: 21
; AccumOffset: 24
; Occupancy: 8
; WaveLimiterHint : 0
; COMPUTE_PGM_RSRC2:SCRATCH_EN: 0
; COMPUTE_PGM_RSRC2:USER_SGPR: 2
; COMPUTE_PGM_RSRC2:TRAP_HANDLER: 0
; COMPUTE_PGM_RSRC2:TGID_X_EN: 1
; COMPUTE_PGM_RSRC2:TGID_Y_EN: 0
; COMPUTE_PGM_RSRC2:TGID_Z_EN: 0
; COMPUTE_PGM_RSRC2:TIDIG_COMP_CNT: 0
; COMPUTE_PGM_RSRC3_GFX90A:ACCUM_OFFSET: 5
; COMPUTE_PGM_RSRC3_GFX90A:TG_SPLIT: 0
	.section	.text._Z6kernelI14inclusive_scanILN6hipcub18BlockScanAlgorithmE1EEhLj256ELj11ELj100EEvPKT0_PS4_S4_,"axG",@progbits,_Z6kernelI14inclusive_scanILN6hipcub18BlockScanAlgorithmE1EEhLj256ELj11ELj100EEvPKT0_PS4_S4_,comdat
	.protected	_Z6kernelI14inclusive_scanILN6hipcub18BlockScanAlgorithmE1EEhLj256ELj11ELj100EEvPKT0_PS4_S4_ ; -- Begin function _Z6kernelI14inclusive_scanILN6hipcub18BlockScanAlgorithmE1EEhLj256ELj11ELj100EEvPKT0_PS4_S4_
	.globl	_Z6kernelI14inclusive_scanILN6hipcub18BlockScanAlgorithmE1EEhLj256ELj11ELj100EEvPKT0_PS4_S4_
	.p2align	8
	.type	_Z6kernelI14inclusive_scanILN6hipcub18BlockScanAlgorithmE1EEhLj256ELj11ELj100EEvPKT0_PS4_S4_,@function
_Z6kernelI14inclusive_scanILN6hipcub18BlockScanAlgorithmE1EEhLj256ELj11ELj100EEvPKT0_PS4_S4_: ; @_Z6kernelI14inclusive_scanILN6hipcub18BlockScanAlgorithmE1EEhLj256ELj11ELj100EEvPKT0_PS4_S4_
; %bb.0:
	s_load_dword s3, s[0:1], 0x24
	s_load_dwordx4 s[4:7], s[0:1], 0x0
	v_mbcnt_lo_u32_b32 v26, -1, 0
	v_add_u32_e32 v30, -1, v0
	v_mov_b32_e32 v3, 0
	s_waitcnt lgkmcnt(0)
	s_and_b32 s0, s3, 0xffff
	s_mul_i32 s2, s2, s0
	v_add_u32_e32 v1, s2, v0
	v_mul_lo_u32 v2, v1, 11
	v_add_u32_e32 v6, 3, v2
	v_add_u32_e32 v4, 1, v2
	global_load_ubyte v31, v2, s[4:5]
	global_load_ubyte v32, v4, s[4:5]
	v_add_u32_e32 v8, 4, v2
	v_add_u32_e32 v10, 5, v2
	;; [unrolled: 1-line block ×4, first 2 shown]
	global_load_ubyte v33, v6, s[4:5]
	global_load_ubyte v34, v8, s[4:5]
	;; [unrolled: 1-line block ×5, first 2 shown]
	v_add_u32_e32 v22, 2, v2
	global_load_ubyte v38, v22, s[4:5]
	v_add_u32_e32 v16, 8, v2
	v_add_u32_e32 v18, 9, v2
	;; [unrolled: 1-line block ×3, first 2 shown]
	global_load_ubyte v24, v16, s[4:5]
	global_load_ubyte v1, v18, s[4:5]
	global_load_ubyte v25, v20, s[4:5]
	v_lshrrev_b32_e32 v27, 5, v0
	v_lshrrev_b32_e32 v28, 3, v0
	v_mbcnt_hi_u32_b32 v26, -1, v26
	v_lshrrev_b32_e32 v39, 5, v30
	s_movk_i32 s10, 0x64
	v_mov_b32_e32 v5, v3
	v_mov_b32_e32 v23, v3
	;; [unrolled: 1-line block ×10, first 2 shown]
	v_cmp_gt_u32_e32 vcc, 64, v0
	v_cmp_eq_u32_e64 s[0:1], 0, v0
	v_cmp_ne_u32_e64 s[2:3], 0, v0
	v_add_u32_e32 v27, v27, v0
	v_lshl_add_u32 v0, v0, 2, v28
	v_and_b32_e32 v28, 15, v26
	v_and_b32_e32 v29, 16, v26
	v_add_u32_e32 v30, v39, v30
	s_waitcnt vmcnt(9)
	v_lshlrev_b16_e32 v32, 8, v32
	s_waitcnt vmcnt(8)
	v_lshlrev_b16_e32 v33, 8, v33
	v_or_b32_e32 v31, v31, v32
	s_waitcnt vmcnt(6)
	v_lshlrev_b16_e32 v35, 8, v35
	s_waitcnt vmcnt(4)
	v_lshlrev_b16_e32 v37, 8, v37
	s_waitcnt vmcnt(3)
	v_or_b32_sdwa v32, v38, v33 dst_sel:WORD_1 dst_unused:UNUSED_PAD src0_sel:DWORD src1_sel:DWORD
	v_or_b32_e32 v33, v34, v35
	v_or_b32_sdwa v34, v36, v37 dst_sel:WORD_1 dst_unused:UNUSED_PAD src0_sel:DWORD src1_sel:DWORD
	v_or_b32_sdwa v32, v31, v32 dst_sel:DWORD dst_unused:UNUSED_PAD src0_sel:WORD_0 src1_sel:DWORD
	v_or_b32_sdwa v33, v33, v34 dst_sel:DWORD dst_unused:UNUSED_PAD src0_sel:WORD_0 src1_sel:DWORD
	v_add_u32_e32 v31, -1, v26
	s_branch .LBB46_2
.LBB46_1:                               ;   in Loop: Header=BB46_2 Depth=1
	s_or_b64 exec, exec, s[4:5]
	s_waitcnt lgkmcnt(0)
	v_add_u16_e32 v41, v36, v32
	v_add_u16_e32 v40, v41, v35
	v_add_u16_sdwa v39, v40, v32 dst_sel:DWORD dst_unused:UNUSED_PAD src0_sel:DWORD src1_sel:WORD_1
	v_add_u16_sdwa v38, v39, v32 dst_sel:DWORD dst_unused:UNUSED_PAD src0_sel:DWORD src1_sel:BYTE_3
	v_add_u16_e32 v37, v38, v33
	v_add_u16_e32 v36, v37, v34
	v_add_u16_sdwa v35, v36, v33 dst_sel:DWORD dst_unused:UNUSED_PAD src0_sel:DWORD src1_sel:WORD_1
	v_add_u16_sdwa v34, v35, v33 dst_sel:DWORD dst_unused:UNUSED_PAD src0_sel:DWORD src1_sel:BYTE_3
	v_lshlrev_b16_e32 v32, 8, v40
	v_lshlrev_b16_e32 v33, 8, v38
	v_or_b32_sdwa v32, v41, v32 dst_sel:DWORD dst_unused:UNUSED_PAD src0_sel:BYTE_0 src1_sel:DWORD
	v_or_b32_sdwa v33, v39, v33 dst_sel:WORD_1 dst_unused:UNUSED_PAD src0_sel:BYTE_0 src1_sel:DWORD
	v_add_u16_e32 v24, v34, v24
	v_or_b32_sdwa v32, v32, v33 dst_sel:DWORD dst_unused:UNUSED_PAD src0_sel:WORD_0 src1_sel:DWORD
	v_lshlrev_b16_e32 v33, 8, v36
	v_lshlrev_b16_e32 v42, 8, v34
	v_add_u16_e32 v1, v24, v1
	v_or_b32_sdwa v33, v37, v33 dst_sel:DWORD dst_unused:UNUSED_PAD src0_sel:BYTE_0 src1_sel:DWORD
	v_or_b32_sdwa v42, v35, v42 dst_sel:WORD_1 dst_unused:UNUSED_PAD src0_sel:BYTE_0 src1_sel:DWORD
	s_add_i32 s10, s10, -1
	v_add_u16_e32 v25, v1, v25
	s_cmp_lg_u32 s10, 0
	v_or_b32_sdwa v33, v33, v42 dst_sel:DWORD dst_unused:UNUSED_PAD src0_sel:WORD_0 src1_sel:DWORD
	s_cbranch_scc0 .LBB46_6
.LBB46_2:                               ; =>This Inner Loop Header: Depth=1
	v_lshrrev_b32_e32 v35, 8, v32
	v_add_u16_e32 v36, v35, v32
	v_add_u16_sdwa v36, v36, v32 dst_sel:DWORD dst_unused:UNUSED_PAD src0_sel:DWORD src1_sel:WORD_1
	v_add_u16_sdwa v36, v36, v32 dst_sel:DWORD dst_unused:UNUSED_PAD src0_sel:DWORD src1_sel:BYTE_3
	v_lshrrev_b32_e32 v34, 8, v33
	v_add_u16_e32 v36, v36, v33
	v_add_u16_e32 v36, v36, v34
	v_add_u16_sdwa v36, v36, v33 dst_sel:DWORD dst_unused:UNUSED_PAD src0_sel:DWORD src1_sel:WORD_1
	v_add_u16_sdwa v36, v36, v33 dst_sel:DWORD dst_unused:UNUSED_PAD src0_sel:DWORD src1_sel:BYTE_3
	s_waitcnt vmcnt(2)
	v_add_u16_e32 v36, v36, v24
	s_waitcnt vmcnt(1)
	v_add_u16_e32 v36, v36, v1
	;; [unrolled: 2-line block ×3, first 2 shown]
	ds_write_b8 v27, v36
	s_waitcnt lgkmcnt(0)
	s_barrier
	s_and_saveexec_b64 s[8:9], vcc
	s_cbranch_execz .LBB46_4
; %bb.3:                                ;   in Loop: Header=BB46_2 Depth=1
	ds_read_u8 v37, v0
	ds_read_u8 v38, v0 offset:1
	ds_read_u8 v39, v0 offset:2
	;; [unrolled: 1-line block ×3, first 2 shown]
	v_cmp_ne_u32_e64 s[4:5], 0, v28
	s_waitcnt lgkmcnt(2)
	v_add_u16_e32 v41, v38, v37
	s_waitcnt lgkmcnt(1)
	v_add_u16_e32 v41, v41, v39
	;; [unrolled: 2-line block ×3, first 2 shown]
	v_and_b32_e32 v42, 0xff, v41
	s_nop 1
	v_mov_b32_dpp v42, v42 row_shr:1 row_mask:0xf bank_mask:0xf
	v_cndmask_b32_e64 v42, 0, v42, s[4:5]
	v_add_u16_e32 v41, v42, v41
	v_and_b32_e32 v42, 0xff, v41
	v_cmp_lt_u32_e64 s[4:5], 1, v28
	s_nop 0
	v_mov_b32_dpp v42, v42 row_shr:2 row_mask:0xf bank_mask:0xf
	v_cndmask_b32_e64 v42, 0, v42, s[4:5]
	v_add_u16_e32 v41, v41, v42
	v_and_b32_e32 v42, 0xff, v41
	v_cmp_lt_u32_e64 s[4:5], 3, v28
	;; [unrolled: 6-line block ×3, first 2 shown]
	s_nop 0
	v_mov_b32_dpp v42, v42 row_shr:8 row_mask:0xf bank_mask:0xf
	v_cndmask_b32_e64 v42, 0, v42, s[4:5]
	v_add_u16_e32 v41, v41, v42
	v_and_b32_e32 v42, 0xff, v41
	v_cmp_ne_u32_e64 s[4:5], 0, v29
	s_nop 0
	v_mov_b32_dpp v42, v42 row_bcast:15 row_mask:0xf bank_mask:0xf
	v_cndmask_b32_e64 v42, 0, v42, s[4:5]
	v_add_u16_e32 v41, v41, v42
	v_and_b32_e32 v42, 0xff, v41
	v_cmp_lt_u32_e64 s[4:5], 31, v26
	s_nop 0
	v_mov_b32_dpp v42, v42 row_bcast:31 row_mask:0xf bank_mask:0xf
	v_cndmask_b32_e64 v42, 0, v42, s[4:5]
	v_add_u16_e32 v41, v41, v42
	v_and_b32_e32 v42, 64, v26
	v_cmp_lt_i32_e64 s[4:5], v31, v42
	v_and_b32_e32 v41, 0xff, v41
	s_nop 0
	v_cndmask_b32_e64 v42, v31, v26, s[4:5]
	v_lshlrev_b32_e32 v42, 2, v42
	ds_bpermute_b32 v41, v42, v41
	s_waitcnt lgkmcnt(0)
	v_add_u16_e32 v37, v37, v41
	v_cndmask_b32_e64 v36, v37, v36, s[0:1]
	ds_write_b8 v0, v36
	v_add_u16_e32 v36, v36, v38
	ds_write_b8 v0, v36 offset:1
	v_add_u16_e32 v36, v36, v39
	ds_write_b8 v0, v36 offset:2
	;; [unrolled: 2-line block ×3, first 2 shown]
.LBB46_4:                               ;   in Loop: Header=BB46_2 Depth=1
	s_or_b64 exec, exec, s[8:9]
	v_mov_b32_e32 v36, 0
	s_waitcnt lgkmcnt(0)
	s_barrier
	s_and_saveexec_b64 s[4:5], s[2:3]
	s_cbranch_execz .LBB46_1
; %bb.5:                                ;   in Loop: Header=BB46_2 Depth=1
	ds_read_u8 v36, v30
	s_branch .LBB46_1
.LBB46_6:
	v_lshl_add_u64 v[2:3], s[6:7], 0, v[2:3]
	global_store_byte v[2:3], v41, off
	v_lshl_add_u64 v[2:3], s[6:7], 0, v[4:5]
	global_store_byte v[2:3], v40, off
	;; [unrolled: 2-line block ×11, first 2 shown]
	s_endpgm
	.section	.rodata,"a",@progbits
	.p2align	6, 0x0
	.amdhsa_kernel _Z6kernelI14inclusive_scanILN6hipcub18BlockScanAlgorithmE1EEhLj256ELj11ELj100EEvPKT0_PS4_S4_
		.amdhsa_group_segment_fixed_size 264
		.amdhsa_private_segment_fixed_size 0
		.amdhsa_kernarg_size 280
		.amdhsa_user_sgpr_count 2
		.amdhsa_user_sgpr_dispatch_ptr 0
		.amdhsa_user_sgpr_queue_ptr 0
		.amdhsa_user_sgpr_kernarg_segment_ptr 1
		.amdhsa_user_sgpr_dispatch_id 0
		.amdhsa_user_sgpr_kernarg_preload_length 0
		.amdhsa_user_sgpr_kernarg_preload_offset 0
		.amdhsa_user_sgpr_private_segment_size 0
		.amdhsa_uses_dynamic_stack 0
		.amdhsa_enable_private_segment 0
		.amdhsa_system_sgpr_workgroup_id_x 1
		.amdhsa_system_sgpr_workgroup_id_y 0
		.amdhsa_system_sgpr_workgroup_id_z 0
		.amdhsa_system_sgpr_workgroup_info 0
		.amdhsa_system_vgpr_workitem_id 0
		.amdhsa_next_free_vgpr 43
		.amdhsa_next_free_sgpr 11
		.amdhsa_accum_offset 44
		.amdhsa_reserve_vcc 1
		.amdhsa_float_round_mode_32 0
		.amdhsa_float_round_mode_16_64 0
		.amdhsa_float_denorm_mode_32 3
		.amdhsa_float_denorm_mode_16_64 3
		.amdhsa_dx10_clamp 1
		.amdhsa_ieee_mode 1
		.amdhsa_fp16_overflow 0
		.amdhsa_tg_split 0
		.amdhsa_exception_fp_ieee_invalid_op 0
		.amdhsa_exception_fp_denorm_src 0
		.amdhsa_exception_fp_ieee_div_zero 0
		.amdhsa_exception_fp_ieee_overflow 0
		.amdhsa_exception_fp_ieee_underflow 0
		.amdhsa_exception_fp_ieee_inexact 0
		.amdhsa_exception_int_div_zero 0
	.end_amdhsa_kernel
	.section	.text._Z6kernelI14inclusive_scanILN6hipcub18BlockScanAlgorithmE1EEhLj256ELj11ELj100EEvPKT0_PS4_S4_,"axG",@progbits,_Z6kernelI14inclusive_scanILN6hipcub18BlockScanAlgorithmE1EEhLj256ELj11ELj100EEvPKT0_PS4_S4_,comdat
.Lfunc_end46:
	.size	_Z6kernelI14inclusive_scanILN6hipcub18BlockScanAlgorithmE1EEhLj256ELj11ELj100EEvPKT0_PS4_S4_, .Lfunc_end46-_Z6kernelI14inclusive_scanILN6hipcub18BlockScanAlgorithmE1EEhLj256ELj11ELj100EEvPKT0_PS4_S4_
                                        ; -- End function
	.section	.AMDGPU.csdata,"",@progbits
; Kernel info:
; codeLenInByte = 1240
; NumSgprs: 17
; NumVgprs: 43
; NumAgprs: 0
; TotalNumVgprs: 43
; ScratchSize: 0
; MemoryBound: 0
; FloatMode: 240
; IeeeMode: 1
; LDSByteSize: 264 bytes/workgroup (compile time only)
; SGPRBlocks: 2
; VGPRBlocks: 5
; NumSGPRsForWavesPerEU: 17
; NumVGPRsForWavesPerEU: 43
; AccumOffset: 44
; Occupancy: 8
; WaveLimiterHint : 0
; COMPUTE_PGM_RSRC2:SCRATCH_EN: 0
; COMPUTE_PGM_RSRC2:USER_SGPR: 2
; COMPUTE_PGM_RSRC2:TRAP_HANDLER: 0
; COMPUTE_PGM_RSRC2:TGID_X_EN: 1
; COMPUTE_PGM_RSRC2:TGID_Y_EN: 0
; COMPUTE_PGM_RSRC2:TGID_Z_EN: 0
; COMPUTE_PGM_RSRC2:TIDIG_COMP_CNT: 0
; COMPUTE_PGM_RSRC3_GFX90A:ACCUM_OFFSET: 10
; COMPUTE_PGM_RSRC3_GFX90A:TG_SPLIT: 0
	.section	.text._Z6kernelI14inclusive_scanILN6hipcub18BlockScanAlgorithmE1EEhLj256ELj16ELj100EEvPKT0_PS4_S4_,"axG",@progbits,_Z6kernelI14inclusive_scanILN6hipcub18BlockScanAlgorithmE1EEhLj256ELj16ELj100EEvPKT0_PS4_S4_,comdat
	.protected	_Z6kernelI14inclusive_scanILN6hipcub18BlockScanAlgorithmE1EEhLj256ELj16ELj100EEvPKT0_PS4_S4_ ; -- Begin function _Z6kernelI14inclusive_scanILN6hipcub18BlockScanAlgorithmE1EEhLj256ELj16ELj100EEvPKT0_PS4_S4_
	.globl	_Z6kernelI14inclusive_scanILN6hipcub18BlockScanAlgorithmE1EEhLj256ELj16ELj100EEvPKT0_PS4_S4_
	.p2align	8
	.type	_Z6kernelI14inclusive_scanILN6hipcub18BlockScanAlgorithmE1EEhLj256ELj16ELj100EEvPKT0_PS4_S4_,@function
_Z6kernelI14inclusive_scanILN6hipcub18BlockScanAlgorithmE1EEhLj256ELj16ELj100EEvPKT0_PS4_S4_: ; @_Z6kernelI14inclusive_scanILN6hipcub18BlockScanAlgorithmE1EEhLj256ELj16ELj100EEvPKT0_PS4_S4_
; %bb.0:
	s_load_dword s3, s[0:1], 0x24
	s_load_dwordx4 s[4:7], s[0:1], 0x0
	v_lshrrev_b32_e32 v1, 5, v0
	v_lshrrev_b32_e32 v8, 3, v0
	v_add_u32_e32 v1, v1, v0
	s_waitcnt lgkmcnt(0)
	s_and_b32 s0, s3, 0xffff
	s_mul_i32 s2, s2, s0
	v_add_lshl_u32 v6, s2, v0, 4
	global_load_dwordx4 v[2:5], v6, s[4:5]
	v_cmp_gt_u32_e32 vcc, 64, v0
	v_cmp_eq_u32_e64 s[0:1], 0, v0
	v_cmp_ne_u32_e64 s[2:3], 0, v0
	v_lshl_add_u32 v8, v0, 2, v8
	v_add_u32_e32 v0, -1, v0
	v_lshrrev_b32_e32 v9, 5, v0
	v_add_u32_e32 v0, v9, v0
	v_mbcnt_lo_u32_b32 v9, -1, 0
	v_mbcnt_hi_u32_b32 v9, -1, v9
	v_mov_b32_e32 v7, 0
	s_movk_i32 s10, 0x64
	v_and_b32_e32 v10, 15, v9
	v_and_b32_e32 v11, 16, v9
	v_add_u32_e32 v12, -1, v9
	v_and_b32_e32 v13, 64, v9
	s_branch .LBB47_2
.LBB47_1:                               ;   in Loop: Header=BB47_2 Depth=1
	s_or_b64 exec, exec, s[4:5]
	s_waitcnt lgkmcnt(0)
	v_add_u16_e32 v18, v18, v2
	v_add_u16_e32 v16, v18, v16
	v_add_u16_sdwa v19, v16, v2 dst_sel:DWORD dst_unused:UNUSED_PAD src0_sel:DWORD src1_sel:WORD_1
	v_add_u16_sdwa v2, v19, v2 dst_sel:DWORD dst_unused:UNUSED_PAD src0_sel:DWORD src1_sel:BYTE_3
	v_add_u16_e32 v20, v2, v3
	v_add_u16_e32 v21, v20, v15
	v_add_u16_sdwa v22, v21, v3 dst_sel:DWORD dst_unused:UNUSED_PAD src0_sel:DWORD src1_sel:WORD_1
	v_add_u16_sdwa v3, v22, v3 dst_sel:DWORD dst_unused:UNUSED_PAD src0_sel:DWORD src1_sel:BYTE_3
	;; [unrolled: 4-line block ×4, first 2 shown]
	v_lshlrev_b16_e32 v14, 8, v16
	v_lshlrev_b16_e32 v16, 8, v21
	v_or_b32_sdwa v14, v18, v14 dst_sel:DWORD dst_unused:UNUSED_PAD src0_sel:BYTE_0 src1_sel:DWORD
	v_lshlrev_b16_e32 v2, 8, v2
	v_or_b32_sdwa v16, v20, v16 dst_sel:DWORD dst_unused:UNUSED_PAD src0_sel:BYTE_0 src1_sel:DWORD
	v_lshlrev_b16_e32 v3, 8, v3
	v_lshlrev_b16_e32 v18, 8, v24
	;; [unrolled: 1-line block ×5, first 2 shown]
	v_or_b32_sdwa v15, v19, v2 dst_sel:WORD_1 dst_unused:UNUSED_PAD src0_sel:BYTE_0 src1_sel:DWORD
	v_or_b32_sdwa v17, v22, v3 dst_sel:WORD_1 dst_unused:UNUSED_PAD src0_sel:BYTE_0 src1_sel:DWORD
	v_or_b32_sdwa v18, v23, v18 dst_sel:DWORD dst_unused:UNUSED_PAD src0_sel:BYTE_0 src1_sel:DWORD
	v_or_b32_sdwa v19, v25, v4 dst_sel:WORD_1 dst_unused:UNUSED_PAD src0_sel:BYTE_0 src1_sel:DWORD
	v_or_b32_sdwa v20, v26, v20 dst_sel:DWORD dst_unused:UNUSED_PAD src0_sel:BYTE_0 src1_sel:DWORD
	v_or_b32_sdwa v21, v28, v5 dst_sel:WORD_1 dst_unused:UNUSED_PAD src0_sel:BYTE_0 src1_sel:DWORD
	s_add_i32 s10, s10, -1
	v_or_b32_sdwa v2, v14, v15 dst_sel:DWORD dst_unused:UNUSED_PAD src0_sel:WORD_0 src1_sel:DWORD
	v_or_b32_sdwa v3, v16, v17 dst_sel:DWORD dst_unused:UNUSED_PAD src0_sel:WORD_0 src1_sel:DWORD
	;; [unrolled: 1-line block ×3, first 2 shown]
	s_cmp_lg_u32 s10, 0
	v_or_b32_sdwa v5, v20, v21 dst_sel:DWORD dst_unused:UNUSED_PAD src0_sel:WORD_0 src1_sel:DWORD
	s_cbranch_scc0 .LBB47_6
.LBB47_2:                               ; =>This Inner Loop Header: Depth=1
	s_waitcnt vmcnt(0)
	v_lshrrev_b32_e32 v16, 8, v2
	v_add_u16_e32 v17, v16, v2
	v_add_u16_sdwa v17, v17, v2 dst_sel:DWORD dst_unused:UNUSED_PAD src0_sel:DWORD src1_sel:WORD_1
	v_add_u16_sdwa v17, v17, v2 dst_sel:DWORD dst_unused:UNUSED_PAD src0_sel:DWORD src1_sel:BYTE_3
	v_lshrrev_b32_e32 v15, 8, v3
	v_add_u16_e32 v17, v17, v3
	v_add_u16_e32 v17, v17, v15
	v_add_u16_sdwa v17, v17, v3 dst_sel:DWORD dst_unused:UNUSED_PAD src0_sel:DWORD src1_sel:WORD_1
	v_add_u16_sdwa v17, v17, v3 dst_sel:DWORD dst_unused:UNUSED_PAD src0_sel:DWORD src1_sel:BYTE_3
	v_add_u16_e32 v18, v17, v4
	v_lshrrev_b32_e32 v17, 8, v4
	v_add_u16_e32 v18, v18, v17
	v_add_u16_sdwa v18, v18, v4 dst_sel:DWORD dst_unused:UNUSED_PAD src0_sel:DWORD src1_sel:WORD_1
	v_add_u16_sdwa v18, v18, v4 dst_sel:DWORD dst_unused:UNUSED_PAD src0_sel:DWORD src1_sel:BYTE_3
	v_lshrrev_b32_e32 v14, 8, v5
	v_add_u16_e32 v18, v18, v5
	v_add_u16_e32 v18, v18, v14
	v_add_u16_sdwa v18, v18, v5 dst_sel:DWORD dst_unused:UNUSED_PAD src0_sel:DWORD src1_sel:WORD_1
	v_add_u16_sdwa v18, v18, v5 dst_sel:DWORD dst_unused:UNUSED_PAD src0_sel:DWORD src1_sel:BYTE_3
	ds_write_b8 v1, v18
	s_waitcnt lgkmcnt(0)
	s_barrier
	s_and_saveexec_b64 s[8:9], vcc
	s_cbranch_execz .LBB47_4
; %bb.3:                                ;   in Loop: Header=BB47_2 Depth=1
	ds_read_u8 v19, v8
	ds_read_u8 v20, v8 offset:1
	ds_read_u8 v21, v8 offset:2
	;; [unrolled: 1-line block ×3, first 2 shown]
	v_cmp_ne_u32_e64 s[4:5], 0, v10
	s_waitcnt lgkmcnt(2)
	v_add_u16_e32 v23, v20, v19
	s_waitcnt lgkmcnt(1)
	v_add_u16_e32 v23, v23, v21
	;; [unrolled: 2-line block ×3, first 2 shown]
	v_and_b32_e32 v24, 0xff, v23
	s_nop 1
	v_mov_b32_dpp v24, v24 row_shr:1 row_mask:0xf bank_mask:0xf
	v_cndmask_b32_e64 v24, 0, v24, s[4:5]
	v_add_u16_e32 v23, v24, v23
	v_and_b32_e32 v24, 0xff, v23
	v_cmp_lt_u32_e64 s[4:5], 1, v10
	s_nop 0
	v_mov_b32_dpp v24, v24 row_shr:2 row_mask:0xf bank_mask:0xf
	v_cndmask_b32_e64 v24, 0, v24, s[4:5]
	v_add_u16_e32 v23, v23, v24
	v_and_b32_e32 v24, 0xff, v23
	v_cmp_lt_u32_e64 s[4:5], 3, v10
	;; [unrolled: 6-line block ×3, first 2 shown]
	s_nop 0
	v_mov_b32_dpp v24, v24 row_shr:8 row_mask:0xf bank_mask:0xf
	v_cndmask_b32_e64 v24, 0, v24, s[4:5]
	v_add_u16_e32 v23, v23, v24
	v_and_b32_e32 v24, 0xff, v23
	v_cmp_ne_u32_e64 s[4:5], 0, v11
	s_nop 0
	v_mov_b32_dpp v24, v24 row_bcast:15 row_mask:0xf bank_mask:0xf
	v_cndmask_b32_e64 v24, 0, v24, s[4:5]
	v_add_u16_e32 v23, v23, v24
	v_and_b32_e32 v24, 0xff, v23
	v_cmp_lt_u32_e64 s[4:5], 31, v9
	s_nop 0
	v_mov_b32_dpp v24, v24 row_bcast:31 row_mask:0xf bank_mask:0xf
	v_cndmask_b32_e64 v24, 0, v24, s[4:5]
	v_cmp_lt_i32_e64 s[4:5], v12, v13
	v_add_u16_e32 v23, v23, v24
	v_and_b32_e32 v23, 0xff, v23
	v_cndmask_b32_e64 v24, v12, v9, s[4:5]
	v_lshlrev_b32_e32 v24, 2, v24
	ds_bpermute_b32 v23, v24, v23
	s_waitcnt lgkmcnt(0)
	v_add_u16_e32 v19, v19, v23
	v_cndmask_b32_e64 v18, v19, v18, s[0:1]
	ds_write_b8 v8, v18
	v_add_u16_e32 v18, v18, v20
	ds_write_b8 v8, v18 offset:1
	v_add_u16_e32 v18, v18, v21
	ds_write_b8 v8, v18 offset:2
	;; [unrolled: 2-line block ×3, first 2 shown]
.LBB47_4:                               ;   in Loop: Header=BB47_2 Depth=1
	s_or_b64 exec, exec, s[8:9]
	v_mov_b32_e32 v18, 0
	s_waitcnt lgkmcnt(0)
	s_barrier
	s_and_saveexec_b64 s[4:5], s[2:3]
	s_cbranch_execz .LBB47_1
; %bb.5:                                ;   in Loop: Header=BB47_2 Depth=1
	ds_read_u8 v18, v0
	s_branch .LBB47_1
.LBB47_6:
	v_lshl_add_u64 v[4:5], s[6:7], 0, v[6:7]
	v_or_b32_sdwa v3, v20, v21 dst_sel:DWORD dst_unused:UNUSED_PAD src0_sel:WORD_0 src1_sel:DWORD
	v_or_b32_sdwa v2, v18, v19 dst_sel:DWORD dst_unused:UNUSED_PAD src0_sel:WORD_0 src1_sel:DWORD
	;; [unrolled: 1-line block ×4, first 2 shown]
	global_store_dwordx4 v[4:5], v[0:3], off
	s_endpgm
	.section	.rodata,"a",@progbits
	.p2align	6, 0x0
	.amdhsa_kernel _Z6kernelI14inclusive_scanILN6hipcub18BlockScanAlgorithmE1EEhLj256ELj16ELj100EEvPKT0_PS4_S4_
		.amdhsa_group_segment_fixed_size 264
		.amdhsa_private_segment_fixed_size 0
		.amdhsa_kernarg_size 280
		.amdhsa_user_sgpr_count 2
		.amdhsa_user_sgpr_dispatch_ptr 0
		.amdhsa_user_sgpr_queue_ptr 0
		.amdhsa_user_sgpr_kernarg_segment_ptr 1
		.amdhsa_user_sgpr_dispatch_id 0
		.amdhsa_user_sgpr_kernarg_preload_length 0
		.amdhsa_user_sgpr_kernarg_preload_offset 0
		.amdhsa_user_sgpr_private_segment_size 0
		.amdhsa_uses_dynamic_stack 0
		.amdhsa_enable_private_segment 0
		.amdhsa_system_sgpr_workgroup_id_x 1
		.amdhsa_system_sgpr_workgroup_id_y 0
		.amdhsa_system_sgpr_workgroup_id_z 0
		.amdhsa_system_sgpr_workgroup_info 0
		.amdhsa_system_vgpr_workitem_id 0
		.amdhsa_next_free_vgpr 29
		.amdhsa_next_free_sgpr 11
		.amdhsa_accum_offset 32
		.amdhsa_reserve_vcc 1
		.amdhsa_float_round_mode_32 0
		.amdhsa_float_round_mode_16_64 0
		.amdhsa_float_denorm_mode_32 3
		.amdhsa_float_denorm_mode_16_64 3
		.amdhsa_dx10_clamp 1
		.amdhsa_ieee_mode 1
		.amdhsa_fp16_overflow 0
		.amdhsa_tg_split 0
		.amdhsa_exception_fp_ieee_invalid_op 0
		.amdhsa_exception_fp_denorm_src 0
		.amdhsa_exception_fp_ieee_div_zero 0
		.amdhsa_exception_fp_ieee_overflow 0
		.amdhsa_exception_fp_ieee_underflow 0
		.amdhsa_exception_fp_ieee_inexact 0
		.amdhsa_exception_int_div_zero 0
	.end_amdhsa_kernel
	.section	.text._Z6kernelI14inclusive_scanILN6hipcub18BlockScanAlgorithmE1EEhLj256ELj16ELj100EEvPKT0_PS4_S4_,"axG",@progbits,_Z6kernelI14inclusive_scanILN6hipcub18BlockScanAlgorithmE1EEhLj256ELj16ELj100EEvPKT0_PS4_S4_,comdat
.Lfunc_end47:
	.size	_Z6kernelI14inclusive_scanILN6hipcub18BlockScanAlgorithmE1EEhLj256ELj16ELj100EEvPKT0_PS4_S4_, .Lfunc_end47-_Z6kernelI14inclusive_scanILN6hipcub18BlockScanAlgorithmE1EEhLj256ELj16ELj100EEvPKT0_PS4_S4_
                                        ; -- End function
	.section	.AMDGPU.csdata,"",@progbits
; Kernel info:
; codeLenInByte = 1004
; NumSgprs: 17
; NumVgprs: 29
; NumAgprs: 0
; TotalNumVgprs: 29
; ScratchSize: 0
; MemoryBound: 0
; FloatMode: 240
; IeeeMode: 1
; LDSByteSize: 264 bytes/workgroup (compile time only)
; SGPRBlocks: 2
; VGPRBlocks: 3
; NumSGPRsForWavesPerEU: 17
; NumVGPRsForWavesPerEU: 29
; AccumOffset: 32
; Occupancy: 8
; WaveLimiterHint : 0
; COMPUTE_PGM_RSRC2:SCRATCH_EN: 0
; COMPUTE_PGM_RSRC2:USER_SGPR: 2
; COMPUTE_PGM_RSRC2:TRAP_HANDLER: 0
; COMPUTE_PGM_RSRC2:TGID_X_EN: 1
; COMPUTE_PGM_RSRC2:TGID_Y_EN: 0
; COMPUTE_PGM_RSRC2:TGID_Z_EN: 0
; COMPUTE_PGM_RSRC2:TIDIG_COMP_CNT: 0
; COMPUTE_PGM_RSRC3_GFX90A:ACCUM_OFFSET: 7
; COMPUTE_PGM_RSRC3_GFX90A:TG_SPLIT: 0
	.section	.text._Z6kernelI14inclusive_scanILN6hipcub18BlockScanAlgorithmE1EEN15benchmark_utils11custom_typeIffEELj256ELj1ELj100EEvPKT0_PS7_S7_,"axG",@progbits,_Z6kernelI14inclusive_scanILN6hipcub18BlockScanAlgorithmE1EEN15benchmark_utils11custom_typeIffEELj256ELj1ELj100EEvPKT0_PS7_S7_,comdat
	.protected	_Z6kernelI14inclusive_scanILN6hipcub18BlockScanAlgorithmE1EEN15benchmark_utils11custom_typeIffEELj256ELj1ELj100EEvPKT0_PS7_S7_ ; -- Begin function _Z6kernelI14inclusive_scanILN6hipcub18BlockScanAlgorithmE1EEN15benchmark_utils11custom_typeIffEELj256ELj1ELj100EEvPKT0_PS7_S7_
	.globl	_Z6kernelI14inclusive_scanILN6hipcub18BlockScanAlgorithmE1EEN15benchmark_utils11custom_typeIffEELj256ELj1ELj100EEvPKT0_PS7_S7_
	.p2align	8
	.type	_Z6kernelI14inclusive_scanILN6hipcub18BlockScanAlgorithmE1EEN15benchmark_utils11custom_typeIffEELj256ELj1ELj100EEvPKT0_PS7_S7_,@function
_Z6kernelI14inclusive_scanILN6hipcub18BlockScanAlgorithmE1EEN15benchmark_utils11custom_typeIffEELj256ELj1ELj100EEvPKT0_PS7_S7_: ; @_Z6kernelI14inclusive_scanILN6hipcub18BlockScanAlgorithmE1EEN15benchmark_utils11custom_typeIffEELj256ELj1ELj100EEvPKT0_PS7_S7_
; %bb.0:
	s_load_dwordx4 s[4:7], s[0:1], 0x0
	s_load_dword s3, s[0:1], 0x24
	v_mov_b32_e32 v3, 0
	v_lshrrev_b32_e32 v1, 5, v0
	v_add_lshl_u32 v1, v1, v0, 3
	s_waitcnt lgkmcnt(0)
	v_mov_b32_e32 v4, s4
	s_and_b32 s0, s3, 0xffff
	s_mul_i32 s2, s2, s0
	v_mov_b32_e32 v5, s5
	v_add_u32_e32 v2, s2, v0
	v_lshl_add_u64 v[4:5], v[2:3], 3, v[4:5]
	global_load_dwordx2 v[4:5], v[4:5], off
	v_cmp_gt_u32_e32 vcc, 64, v0
	v_lshlrev_b32_e32 v6, 2, v0
	v_lshrrev_b32_e32 v7, 3, v0
	v_cmp_eq_u32_e64 s[0:1], 0, v0
	v_mbcnt_lo_u32_b32 v0, -1, 0
	v_mbcnt_hi_u32_b32 v0, -1, v0
	v_add_lshl_u32 v6, v7, v6, 3
	s_movk_i32 s8, 0x64
	v_and_b32_e32 v7, 15, v0
	v_and_b32_e32 v8, 16, v0
	v_add_u32_e32 v9, -1, v0
	v_and_b32_e32 v10, 64, v0
	s_branch .LBB48_2
.LBB48_1:                               ;   in Loop: Header=BB48_2 Depth=1
	s_or_b64 exec, exec, s[4:5]
	s_waitcnt lgkmcnt(0)
	s_barrier
	ds_read_b64 v[4:5], v1
	s_add_i32 s8, s8, -1
	s_cmp_lg_u32 s8, 0
	s_cbranch_scc0 .LBB48_4
.LBB48_2:                               ; =>This Inner Loop Header: Depth=1
	s_waitcnt vmcnt(0) lgkmcnt(0)
	ds_write_b64 v1, v[4:5]
	s_waitcnt lgkmcnt(0)
	s_barrier
	s_and_saveexec_b64 s[4:5], vcc
	s_cbranch_execz .LBB48_1
; %bb.3:                                ;   in Loop: Header=BB48_2 Depth=1
	ds_read2_b64 v[12:15], v6 offset1:1
	ds_read2_b64 v[16:19], v6 offset0:2 offset1:3
	v_cmp_eq_u32_e64 s[2:3], 0, v7
	s_waitcnt lgkmcnt(1)
	v_pk_add_f32 v[20:21], v[12:13], v[14:15]
	s_waitcnt lgkmcnt(0)
	v_pk_add_f32 v[20:21], v[20:21], v[16:17]
	s_nop 0
	v_pk_add_f32 v[20:21], v[20:21], v[18:19]
	s_nop 1
	v_mov_b32_dpp v22, v20 row_shr:1 row_mask:0xf bank_mask:0xf
	v_mov_b32_dpp v23, v21 row_shr:1 row_mask:0xf bank_mask:0xf
	v_pk_add_f32 v[22:23], v[20:21], v[22:23]
	s_nop 0
	v_cndmask_b32_e64 v21, v23, v21, s[2:3]
	v_cndmask_b32_e64 v20, v22, v20, s[2:3]
	v_cmp_lt_u32_e64 s[2:3], 1, v7
	v_mov_b32_dpp v23, v21 row_shr:2 row_mask:0xf bank_mask:0xf
	v_mov_b32_dpp v22, v20 row_shr:2 row_mask:0xf bank_mask:0xf
	v_pk_add_f32 v[22:23], v[20:21], v[22:23]
	s_nop 0
	v_cndmask_b32_e64 v21, v21, v23, s[2:3]
	v_cndmask_b32_e64 v20, v20, v22, s[2:3]
	v_cmp_lt_u32_e64 s[2:3], 3, v7
	v_mov_b32_dpp v23, v21 row_shr:4 row_mask:0xf bank_mask:0xf
	v_mov_b32_dpp v22, v20 row_shr:4 row_mask:0xf bank_mask:0xf
	v_pk_add_f32 v[22:23], v[20:21], v[22:23]
	s_nop 0
	v_cndmask_b32_e64 v21, v21, v23, s[2:3]
	v_cndmask_b32_e64 v20, v20, v22, s[2:3]
	v_cmp_lt_u32_e64 s[2:3], 7, v7
	v_mov_b32_dpp v23, v21 row_shr:8 row_mask:0xf bank_mask:0xf
	v_mov_b32_dpp v22, v20 row_shr:8 row_mask:0xf bank_mask:0xf
	v_pk_add_f32 v[22:23], v[20:21], v[22:23]
	s_nop 0
	v_cndmask_b32_e64 v21, v21, v23, s[2:3]
	v_cndmask_b32_e64 v20, v20, v22, s[2:3]
	v_cmp_eq_u32_e64 s[2:3], 0, v8
	v_mov_b32_dpp v23, v21 row_bcast:15 row_mask:0xf bank_mask:0xf
	v_mov_b32_dpp v22, v20 row_bcast:15 row_mask:0xf bank_mask:0xf
	v_pk_add_f32 v[22:23], v[20:21], v[22:23]
	s_nop 0
	v_cndmask_b32_e64 v11, v23, v21, s[2:3]
	v_cndmask_b32_e64 v20, v22, v20, s[2:3]
	v_cmp_lt_u32_e64 s[2:3], 31, v0
	v_mov_b32_dpp v22, v11 row_bcast:31 row_mask:0xf bank_mask:0xf
	v_mov_b32_dpp v21, v20 row_bcast:31 row_mask:0xf bank_mask:0xf
	v_add_f32_e32 v22, v11, v22
	v_add_f32_e32 v21, v20, v21
	v_cndmask_b32_e64 v20, v20, v21, s[2:3]
	v_cndmask_b32_e64 v11, v11, v22, s[2:3]
	v_cmp_lt_i32_e64 s[2:3], v9, v10
	s_nop 1
	v_cndmask_b32_e64 v21, v9, v0, s[2:3]
	v_lshlrev_b32_e32 v21, 2, v21
	ds_bpermute_b32 v20, v21, v20
	ds_bpermute_b32 v21, v21, v11
	s_waitcnt lgkmcnt(0)
	v_pk_add_f32 v[12:13], v[12:13], v[20:21]
	s_nop 0
	v_cndmask_b32_e64 v5, v13, v5, s[0:1]
	v_cndmask_b32_e64 v4, v12, v4, s[0:1]
	v_pk_add_f32 v[12:13], v[14:15], v[4:5]
	ds_write2_b64 v6, v[4:5], v[12:13] offset1:1
	v_pk_add_f32 v[4:5], v[16:17], v[12:13]
	s_nop 0
	v_pk_add_f32 v[12:13], v[18:19], v[4:5]
	ds_write2_b64 v6, v[4:5], v[12:13] offset0:2 offset1:3
	s_branch .LBB48_1
.LBB48_4:
	v_mov_b32_e32 v0, s6
	v_mov_b32_e32 v1, s7
	v_lshl_add_u64 v[0:1], v[2:3], 3, v[0:1]
	s_waitcnt lgkmcnt(0)
	global_store_dwordx2 v[0:1], v[4:5], off
	s_endpgm
	.section	.rodata,"a",@progbits
	.p2align	6, 0x0
	.amdhsa_kernel _Z6kernelI14inclusive_scanILN6hipcub18BlockScanAlgorithmE1EEN15benchmark_utils11custom_typeIffEELj256ELj1ELj100EEvPKT0_PS7_S7_
		.amdhsa_group_segment_fixed_size 2112
		.amdhsa_private_segment_fixed_size 0
		.amdhsa_kernarg_size 280
		.amdhsa_user_sgpr_count 2
		.amdhsa_user_sgpr_dispatch_ptr 0
		.amdhsa_user_sgpr_queue_ptr 0
		.amdhsa_user_sgpr_kernarg_segment_ptr 1
		.amdhsa_user_sgpr_dispatch_id 0
		.amdhsa_user_sgpr_kernarg_preload_length 0
		.amdhsa_user_sgpr_kernarg_preload_offset 0
		.amdhsa_user_sgpr_private_segment_size 0
		.amdhsa_uses_dynamic_stack 0
		.amdhsa_enable_private_segment 0
		.amdhsa_system_sgpr_workgroup_id_x 1
		.amdhsa_system_sgpr_workgroup_id_y 0
		.amdhsa_system_sgpr_workgroup_id_z 0
		.amdhsa_system_sgpr_workgroup_info 0
		.amdhsa_system_vgpr_workitem_id 0
		.amdhsa_next_free_vgpr 24
		.amdhsa_next_free_sgpr 9
		.amdhsa_accum_offset 24
		.amdhsa_reserve_vcc 1
		.amdhsa_float_round_mode_32 0
		.amdhsa_float_round_mode_16_64 0
		.amdhsa_float_denorm_mode_32 3
		.amdhsa_float_denorm_mode_16_64 3
		.amdhsa_dx10_clamp 1
		.amdhsa_ieee_mode 1
		.amdhsa_fp16_overflow 0
		.amdhsa_tg_split 0
		.amdhsa_exception_fp_ieee_invalid_op 0
		.amdhsa_exception_fp_denorm_src 0
		.amdhsa_exception_fp_ieee_div_zero 0
		.amdhsa_exception_fp_ieee_overflow 0
		.amdhsa_exception_fp_ieee_underflow 0
		.amdhsa_exception_fp_ieee_inexact 0
		.amdhsa_exception_int_div_zero 0
	.end_amdhsa_kernel
	.section	.text._Z6kernelI14inclusive_scanILN6hipcub18BlockScanAlgorithmE1EEN15benchmark_utils11custom_typeIffEELj256ELj1ELj100EEvPKT0_PS7_S7_,"axG",@progbits,_Z6kernelI14inclusive_scanILN6hipcub18BlockScanAlgorithmE1EEN15benchmark_utils11custom_typeIffEELj256ELj1ELj100EEvPKT0_PS7_S7_,comdat
.Lfunc_end48:
	.size	_Z6kernelI14inclusive_scanILN6hipcub18BlockScanAlgorithmE1EEN15benchmark_utils11custom_typeIffEELj256ELj1ELj100EEvPKT0_PS7_S7_, .Lfunc_end48-_Z6kernelI14inclusive_scanILN6hipcub18BlockScanAlgorithmE1EEN15benchmark_utils11custom_typeIffEELj256ELj1ELj100EEvPKT0_PS7_S7_
                                        ; -- End function
	.section	.AMDGPU.csdata,"",@progbits
; Kernel info:
; codeLenInByte = 720
; NumSgprs: 15
; NumVgprs: 24
; NumAgprs: 0
; TotalNumVgprs: 24
; ScratchSize: 0
; MemoryBound: 0
; FloatMode: 240
; IeeeMode: 1
; LDSByteSize: 2112 bytes/workgroup (compile time only)
; SGPRBlocks: 1
; VGPRBlocks: 2
; NumSGPRsForWavesPerEU: 15
; NumVGPRsForWavesPerEU: 24
; AccumOffset: 24
; Occupancy: 8
; WaveLimiterHint : 0
; COMPUTE_PGM_RSRC2:SCRATCH_EN: 0
; COMPUTE_PGM_RSRC2:USER_SGPR: 2
; COMPUTE_PGM_RSRC2:TRAP_HANDLER: 0
; COMPUTE_PGM_RSRC2:TGID_X_EN: 1
; COMPUTE_PGM_RSRC2:TGID_Y_EN: 0
; COMPUTE_PGM_RSRC2:TGID_Z_EN: 0
; COMPUTE_PGM_RSRC2:TIDIG_COMP_CNT: 0
; COMPUTE_PGM_RSRC3_GFX90A:ACCUM_OFFSET: 5
; COMPUTE_PGM_RSRC3_GFX90A:TG_SPLIT: 0
	.section	.text._Z6kernelI14inclusive_scanILN6hipcub18BlockScanAlgorithmE1EEN15benchmark_utils11custom_typeIffEELj256ELj4ELj100EEvPKT0_PS7_S7_,"axG",@progbits,_Z6kernelI14inclusive_scanILN6hipcub18BlockScanAlgorithmE1EEN15benchmark_utils11custom_typeIffEELj256ELj4ELj100EEvPKT0_PS7_S7_,comdat
	.protected	_Z6kernelI14inclusive_scanILN6hipcub18BlockScanAlgorithmE1EEN15benchmark_utils11custom_typeIffEELj256ELj4ELj100EEvPKT0_PS7_S7_ ; -- Begin function _Z6kernelI14inclusive_scanILN6hipcub18BlockScanAlgorithmE1EEN15benchmark_utils11custom_typeIffEELj256ELj4ELj100EEvPKT0_PS7_S7_
	.globl	_Z6kernelI14inclusive_scanILN6hipcub18BlockScanAlgorithmE1EEN15benchmark_utils11custom_typeIffEELj256ELj4ELj100EEvPKT0_PS7_S7_
	.p2align	8
	.type	_Z6kernelI14inclusive_scanILN6hipcub18BlockScanAlgorithmE1EEN15benchmark_utils11custom_typeIffEELj256ELj4ELj100EEvPKT0_PS7_S7_,@function
_Z6kernelI14inclusive_scanILN6hipcub18BlockScanAlgorithmE1EEN15benchmark_utils11custom_typeIffEELj256ELj4ELj100EEvPKT0_PS7_S7_: ; @_Z6kernelI14inclusive_scanILN6hipcub18BlockScanAlgorithmE1EEN15benchmark_utils11custom_typeIffEELj256ELj4ELj100EEvPKT0_PS7_S7_
; %bb.0:
	s_load_dwordx4 s[4:7], s[0:1], 0x0
	s_load_dword s3, s[0:1], 0x24
	v_mov_b32_e32 v15, 0
	v_lshrrev_b32_e32 v1, 5, v0
	v_add_lshl_u32 v18, v1, v0, 3
	s_waitcnt lgkmcnt(0)
	v_mov_b32_e32 v2, s4
	s_and_b32 s0, s3, 0xffff
	s_mul_i32 s2, s2, s0
	v_mov_b32_e32 v3, s5
	v_add_lshl_u32 v14, s2, v0, 2
	v_lshl_add_u64 v[10:11], v[14:15], 3, v[2:3]
	global_load_dwordx4 v[6:9], v[10:11], off offset:16
	global_load_dwordx4 v[2:5], v[10:11], off
	v_cmp_gt_u32_e32 vcc, 64, v0
	v_cmp_ne_u32_e64 s[0:1], 0, v0
	v_cmp_eq_u32_e64 s[2:3], 0, v0
	v_lshlrev_b32_e32 v1, 2, v0
	v_lshrrev_b32_e32 v10, 3, v0
	v_add_u32_e32 v0, -1, v0
	v_add_lshl_u32 v19, v10, v1, 3
	v_lshrrev_b32_e32 v1, 5, v0
	v_add_lshl_u32 v20, v1, v0, 3
	v_mbcnt_lo_u32_b32 v0, -1, 0
	v_mbcnt_hi_u32_b32 v21, -1, v0
	s_movk_i32 s10, 0x64
	v_and_b32_e32 v22, 15, v21
	v_and_b32_e32 v23, 16, v21
	v_add_u32_e32 v24, -1, v21
	v_and_b32_e32 v25, 64, v21
.LBB49_1:                               ; =>This Inner Loop Header: Depth=1
	s_waitcnt vmcnt(0)
	v_pk_add_f32 v[0:1], v[4:5], v[2:3]
	s_nop 0
	v_pk_add_f32 v[10:11], v[6:7], v[0:1]
	s_nop 0
	v_pk_add_f32 v[12:13], v[8:9], v[10:11]
	ds_write_b64 v18, v[12:13]
	s_waitcnt lgkmcnt(0)
	s_barrier
	s_and_saveexec_b64 s[8:9], vcc
	s_cbranch_execz .LBB49_3
; %bb.2:                                ;   in Loop: Header=BB49_1 Depth=1
	ds_read2_b64 v[26:29], v19 offset1:1
	ds_read2_b64 v[30:33], v19 offset0:2 offset1:3
	v_cmp_eq_u32_e64 s[4:5], 0, v22
	s_waitcnt lgkmcnt(1)
	v_pk_add_f32 v[16:17], v[26:27], v[28:29]
	s_waitcnt lgkmcnt(0)
	v_pk_add_f32 v[16:17], v[16:17], v[30:31]
	s_nop 0
	v_pk_add_f32 v[16:17], v[16:17], v[32:33]
	s_nop 1
	v_mov_b32_dpp v34, v16 row_shr:1 row_mask:0xf bank_mask:0xf
	v_mov_b32_dpp v35, v17 row_shr:1 row_mask:0xf bank_mask:0xf
	v_pk_add_f32 v[34:35], v[16:17], v[34:35]
	s_nop 0
	v_cndmask_b32_e64 v17, v35, v17, s[4:5]
	v_cndmask_b32_e64 v16, v34, v16, s[4:5]
	v_cmp_lt_u32_e64 s[4:5], 1, v22
	v_mov_b32_dpp v35, v17 row_shr:2 row_mask:0xf bank_mask:0xf
	v_mov_b32_dpp v34, v16 row_shr:2 row_mask:0xf bank_mask:0xf
	v_pk_add_f32 v[34:35], v[16:17], v[34:35]
	s_nop 0
	v_cndmask_b32_e64 v17, v17, v35, s[4:5]
	v_cndmask_b32_e64 v16, v16, v34, s[4:5]
	v_cmp_lt_u32_e64 s[4:5], 3, v22
	;; [unrolled: 7-line block ×3, first 2 shown]
	v_mov_b32_dpp v35, v17 row_shr:8 row_mask:0xf bank_mask:0xf
	v_mov_b32_dpp v34, v16 row_shr:8 row_mask:0xf bank_mask:0xf
	v_pk_add_f32 v[34:35], v[16:17], v[34:35]
	s_nop 0
	v_cndmask_b32_e64 v17, v17, v35, s[4:5]
	v_cndmask_b32_e64 v16, v16, v34, s[4:5]
	v_cmp_eq_u32_e64 s[4:5], 0, v23
	v_mov_b32_dpp v35, v17 row_bcast:15 row_mask:0xf bank_mask:0xf
	v_mov_b32_dpp v34, v16 row_bcast:15 row_mask:0xf bank_mask:0xf
	v_pk_add_f32 v[34:35], v[16:17], v[34:35]
	s_nop 0
	v_cndmask_b32_e64 v17, v35, v17, s[4:5]
	v_cndmask_b32_e64 v16, v34, v16, s[4:5]
	v_cmp_lt_u32_e64 s[4:5], 31, v21
	v_mov_b32_dpp v35, v17 row_bcast:31 row_mask:0xf bank_mask:0xf
	v_mov_b32_dpp v34, v16 row_bcast:31 row_mask:0xf bank_mask:0xf
	v_add_f32_e32 v35, v17, v35
	v_add_f32_e32 v34, v16, v34
	v_cndmask_b32_e64 v16, v16, v34, s[4:5]
	v_cndmask_b32_e64 v17, v17, v35, s[4:5]
	v_cmp_lt_i32_e64 s[4:5], v24, v25
	s_nop 1
	v_cndmask_b32_e64 v34, v24, v21, s[4:5]
	v_lshlrev_b32_e32 v34, 2, v34
	ds_bpermute_b32 v16, v34, v16
	ds_bpermute_b32 v17, v34, v17
	s_waitcnt lgkmcnt(0)
	v_pk_add_f32 v[16:17], v[26:27], v[16:17]
	s_nop 0
	v_cndmask_b32_e64 v17, v17, v13, s[2:3]
	v_cndmask_b32_e64 v16, v16, v12, s[2:3]
	v_pk_add_f32 v[26:27], v[28:29], v[16:17]
	ds_write2_b64 v19, v[16:17], v[26:27] offset1:1
	v_pk_add_f32 v[16:17], v[30:31], v[26:27]
	s_nop 0
	v_pk_add_f32 v[26:27], v[32:33], v[16:17]
	ds_write2_b64 v19, v[16:17], v[26:27] offset0:2 offset1:3
.LBB49_3:                               ;   in Loop: Header=BB49_1 Depth=1
	s_or_b64 exec, exec, s[8:9]
	v_mov_b64_e32 v[16:17], v[12:13]
	s_waitcnt lgkmcnt(0)
	s_barrier
	s_and_saveexec_b64 s[4:5], s[0:1]
	s_cbranch_execnz .LBB49_6
; %bb.4:                                ;   in Loop: Header=BB49_1 Depth=1
	s_or_b64 exec, exec, s[4:5]
	s_and_saveexec_b64 s[4:5], s[0:1]
	s_cbranch_execnz .LBB49_7
.LBB49_5:                               ;   in Loop: Header=BB49_1 Depth=1
	s_or_b64 exec, exec, s[4:5]
	s_add_i32 s10, s10, -1
	s_cmp_lg_u32 s10, 0
	s_cbranch_scc1 .LBB49_8
	s_branch .LBB49_9
.LBB49_6:                               ;   in Loop: Header=BB49_1 Depth=1
	ds_read_b64 v[16:17], v20
	s_or_b64 exec, exec, s[4:5]
	s_and_saveexec_b64 s[4:5], s[0:1]
	s_cbranch_execz .LBB49_5
.LBB49_7:                               ;   in Loop: Header=BB49_1 Depth=1
	s_waitcnt lgkmcnt(0)
	v_pk_add_f32 v[2:3], v[2:3], v[16:17]
	s_nop 0
	v_pk_add_f32 v[0:1], v[4:5], v[2:3]
	s_nop 0
	;; [unrolled: 2-line block ×3, first 2 shown]
	v_pk_add_f32 v[12:13], v[8:9], v[10:11]
	s_or_b64 exec, exec, s[4:5]
	s_add_i32 s10, s10, -1
	s_cmp_lg_u32 s10, 0
	s_cbranch_scc0 .LBB49_9
.LBB49_8:                               ;   in Loop: Header=BB49_1 Depth=1
	v_mov_b64_e32 v[8:9], v[12:13]
	v_mov_b64_e32 v[6:7], v[10:11]
	v_mov_b64_e32 v[4:5], v[0:1]
	s_branch .LBB49_1
.LBB49_9:
	v_mov_b32_e32 v4, s6
	v_mov_b32_e32 v5, s7
	v_lshl_add_u64 v[6:7], v[14:15], 3, v[4:5]
	v_mov_b32_e32 v4, v0
	v_mov_b32_e32 v5, v1
	global_store_dwordx4 v[6:7], v[2:5], off
	global_store_dwordx4 v[6:7], v[10:13], off offset:16
	s_endpgm
	.section	.rodata,"a",@progbits
	.p2align	6, 0x0
	.amdhsa_kernel _Z6kernelI14inclusive_scanILN6hipcub18BlockScanAlgorithmE1EEN15benchmark_utils11custom_typeIffEELj256ELj4ELj100EEvPKT0_PS7_S7_
		.amdhsa_group_segment_fixed_size 2112
		.amdhsa_private_segment_fixed_size 0
		.amdhsa_kernarg_size 280
		.amdhsa_user_sgpr_count 2
		.amdhsa_user_sgpr_dispatch_ptr 0
		.amdhsa_user_sgpr_queue_ptr 0
		.amdhsa_user_sgpr_kernarg_segment_ptr 1
		.amdhsa_user_sgpr_dispatch_id 0
		.amdhsa_user_sgpr_kernarg_preload_length 0
		.amdhsa_user_sgpr_kernarg_preload_offset 0
		.amdhsa_user_sgpr_private_segment_size 0
		.amdhsa_uses_dynamic_stack 0
		.amdhsa_enable_private_segment 0
		.amdhsa_system_sgpr_workgroup_id_x 1
		.amdhsa_system_sgpr_workgroup_id_y 0
		.amdhsa_system_sgpr_workgroup_id_z 0
		.amdhsa_system_sgpr_workgroup_info 0
		.amdhsa_system_vgpr_workitem_id 0
		.amdhsa_next_free_vgpr 36
		.amdhsa_next_free_sgpr 11
		.amdhsa_accum_offset 36
		.amdhsa_reserve_vcc 1
		.amdhsa_float_round_mode_32 0
		.amdhsa_float_round_mode_16_64 0
		.amdhsa_float_denorm_mode_32 3
		.amdhsa_float_denorm_mode_16_64 3
		.amdhsa_dx10_clamp 1
		.amdhsa_ieee_mode 1
		.amdhsa_fp16_overflow 0
		.amdhsa_tg_split 0
		.amdhsa_exception_fp_ieee_invalid_op 0
		.amdhsa_exception_fp_denorm_src 0
		.amdhsa_exception_fp_ieee_div_zero 0
		.amdhsa_exception_fp_ieee_overflow 0
		.amdhsa_exception_fp_ieee_underflow 0
		.amdhsa_exception_fp_ieee_inexact 0
		.amdhsa_exception_int_div_zero 0
	.end_amdhsa_kernel
	.section	.text._Z6kernelI14inclusive_scanILN6hipcub18BlockScanAlgorithmE1EEN15benchmark_utils11custom_typeIffEELj256ELj4ELj100EEvPKT0_PS7_S7_,"axG",@progbits,_Z6kernelI14inclusive_scanILN6hipcub18BlockScanAlgorithmE1EEN15benchmark_utils11custom_typeIffEELj256ELj4ELj100EEvPKT0_PS7_S7_,comdat
.Lfunc_end49:
	.size	_Z6kernelI14inclusive_scanILN6hipcub18BlockScanAlgorithmE1EEN15benchmark_utils11custom_typeIffEELj256ELj4ELj100EEvPKT0_PS7_S7_, .Lfunc_end49-_Z6kernelI14inclusive_scanILN6hipcub18BlockScanAlgorithmE1EEN15benchmark_utils11custom_typeIffEELj256ELj4ELj100EEvPKT0_PS7_S7_
                                        ; -- End function
	.section	.AMDGPU.csdata,"",@progbits
; Kernel info:
; codeLenInByte = 916
; NumSgprs: 17
; NumVgprs: 36
; NumAgprs: 0
; TotalNumVgprs: 36
; ScratchSize: 0
; MemoryBound: 0
; FloatMode: 240
; IeeeMode: 1
; LDSByteSize: 2112 bytes/workgroup (compile time only)
; SGPRBlocks: 2
; VGPRBlocks: 4
; NumSGPRsForWavesPerEU: 17
; NumVGPRsForWavesPerEU: 36
; AccumOffset: 36
; Occupancy: 8
; WaveLimiterHint : 0
; COMPUTE_PGM_RSRC2:SCRATCH_EN: 0
; COMPUTE_PGM_RSRC2:USER_SGPR: 2
; COMPUTE_PGM_RSRC2:TRAP_HANDLER: 0
; COMPUTE_PGM_RSRC2:TGID_X_EN: 1
; COMPUTE_PGM_RSRC2:TGID_Y_EN: 0
; COMPUTE_PGM_RSRC2:TGID_Z_EN: 0
; COMPUTE_PGM_RSRC2:TIDIG_COMP_CNT: 0
; COMPUTE_PGM_RSRC3_GFX90A:ACCUM_OFFSET: 8
; COMPUTE_PGM_RSRC3_GFX90A:TG_SPLIT: 0
	.section	.text._Z6kernelI14inclusive_scanILN6hipcub18BlockScanAlgorithmE1EEN15benchmark_utils11custom_typeIffEELj256ELj8ELj100EEvPKT0_PS7_S7_,"axG",@progbits,_Z6kernelI14inclusive_scanILN6hipcub18BlockScanAlgorithmE1EEN15benchmark_utils11custom_typeIffEELj256ELj8ELj100EEvPKT0_PS7_S7_,comdat
	.protected	_Z6kernelI14inclusive_scanILN6hipcub18BlockScanAlgorithmE1EEN15benchmark_utils11custom_typeIffEELj256ELj8ELj100EEvPKT0_PS7_S7_ ; -- Begin function _Z6kernelI14inclusive_scanILN6hipcub18BlockScanAlgorithmE1EEN15benchmark_utils11custom_typeIffEELj256ELj8ELj100EEvPKT0_PS7_S7_
	.globl	_Z6kernelI14inclusive_scanILN6hipcub18BlockScanAlgorithmE1EEN15benchmark_utils11custom_typeIffEELj256ELj8ELj100EEvPKT0_PS7_S7_
	.p2align	8
	.type	_Z6kernelI14inclusive_scanILN6hipcub18BlockScanAlgorithmE1EEN15benchmark_utils11custom_typeIffEELj256ELj8ELj100EEvPKT0_PS7_S7_,@function
_Z6kernelI14inclusive_scanILN6hipcub18BlockScanAlgorithmE1EEN15benchmark_utils11custom_typeIffEELj256ELj8ELj100EEvPKT0_PS7_S7_: ; @_Z6kernelI14inclusive_scanILN6hipcub18BlockScanAlgorithmE1EEN15benchmark_utils11custom_typeIffEELj256ELj8ELj100EEvPKT0_PS7_S7_
; %bb.0:
	s_load_dwordx4 s[4:7], s[0:1], 0x0
	s_load_dword s3, s[0:1], 0x24
	v_mov_b32_e32 v31, 0
	v_lshrrev_b32_e32 v1, 5, v0
	v_add_lshl_u32 v34, v1, v0, 3
	s_waitcnt lgkmcnt(0)
	v_mov_b32_e32 v2, s4
	s_and_b32 s0, s3, 0xffff
	s_mul_i32 s2, s2, s0
	v_mov_b32_e32 v3, s5
	v_add_lshl_u32 v30, s2, v0, 3
	v_lshl_add_u64 v[18:19], v[30:31], 3, v[2:3]
	global_load_dwordx4 v[6:9], v[18:19], off offset:48
	global_load_dwordx4 v[10:13], v[18:19], off offset:32
	;; [unrolled: 1-line block ×3, first 2 shown]
	global_load_dwordx4 v[2:5], v[18:19], off
	v_cmp_gt_u32_e32 vcc, 64, v0
	v_cmp_ne_u32_e64 s[0:1], 0, v0
	v_cmp_eq_u32_e64 s[2:3], 0, v0
	v_lshlrev_b32_e32 v1, 2, v0
	v_lshrrev_b32_e32 v18, 3, v0
	v_add_u32_e32 v0, -1, v0
	v_add_lshl_u32 v35, v18, v1, 3
	v_lshrrev_b32_e32 v1, 5, v0
	v_add_lshl_u32 v36, v1, v0, 3
	v_mbcnt_lo_u32_b32 v0, -1, 0
	s_movk_i32 s10, 0x64
	v_mbcnt_hi_u32_b32 v37, -1, v0
.LBB50_1:                               ; =>This Inner Loop Header: Depth=1
	s_waitcnt vmcnt(0)
	v_pk_add_f32 v[0:1], v[4:5], v[2:3]
	s_nop 0
	v_pk_add_f32 v[26:27], v[14:15], v[0:1]
	s_nop 0
	;; [unrolled: 2-line block ×6, first 2 shown]
	v_pk_add_f32 v[20:21], v[8:9], v[18:19]
	ds_write_b64 v34, v[20:21]
	s_waitcnt lgkmcnt(0)
	s_barrier
	s_and_saveexec_b64 s[8:9], vcc
	s_cbranch_execz .LBB50_3
; %bb.2:                                ;   in Loop: Header=BB50_1 Depth=1
	ds_read2_b64 v[38:41], v35 offset1:1
	ds_read2_b64 v[42:45], v35 offset0:2 offset1:3
	v_and_b32_e32 v48, 15, v37
	v_cmp_eq_u32_e64 s[4:5], 0, v48
	s_waitcnt lgkmcnt(1)
	v_pk_add_f32 v[32:33], v[38:39], v[40:41]
	s_waitcnt lgkmcnt(0)
	v_pk_add_f32 v[32:33], v[32:33], v[42:43]
	s_nop 0
	v_pk_add_f32 v[32:33], v[32:33], v[44:45]
	s_nop 1
	v_mov_b32_dpp v46, v32 row_shr:1 row_mask:0xf bank_mask:0xf
	v_mov_b32_dpp v47, v33 row_shr:1 row_mask:0xf bank_mask:0xf
	v_pk_add_f32 v[46:47], v[32:33], v[46:47]
	s_nop 0
	v_cndmask_b32_e64 v33, v47, v33, s[4:5]
	v_cndmask_b32_e64 v32, v46, v32, s[4:5]
	v_cmp_lt_u32_e64 s[4:5], 1, v48
	v_mov_b32_dpp v47, v33 row_shr:2 row_mask:0xf bank_mask:0xf
	v_mov_b32_dpp v46, v32 row_shr:2 row_mask:0xf bank_mask:0xf
	v_pk_add_f32 v[46:47], v[32:33], v[46:47]
	s_nop 0
	v_cndmask_b32_e64 v33, v33, v47, s[4:5]
	v_cndmask_b32_e64 v32, v32, v46, s[4:5]
	v_cmp_lt_u32_e64 s[4:5], 3, v48
	;; [unrolled: 7-line block ×3, first 2 shown]
	v_mov_b32_dpp v47, v33 row_shr:8 row_mask:0xf bank_mask:0xf
	v_mov_b32_dpp v46, v32 row_shr:8 row_mask:0xf bank_mask:0xf
	v_pk_add_f32 v[46:47], v[32:33], v[46:47]
	v_and_b32_e32 v48, 16, v37
	v_cndmask_b32_e64 v33, v33, v47, s[4:5]
	v_cndmask_b32_e64 v32, v32, v46, s[4:5]
	v_cmp_eq_u32_e64 s[4:5], 0, v48
	v_mov_b32_dpp v47, v33 row_bcast:15 row_mask:0xf bank_mask:0xf
	v_mov_b32_dpp v46, v32 row_bcast:15 row_mask:0xf bank_mask:0xf
	v_pk_add_f32 v[46:47], v[32:33], v[46:47]
	s_nop 0
	v_cndmask_b32_e64 v33, v47, v33, s[4:5]
	v_cndmask_b32_e64 v32, v46, v32, s[4:5]
	v_cmp_lt_u32_e64 s[4:5], 31, v37
	v_mov_b32_dpp v47, v33 row_bcast:31 row_mask:0xf bank_mask:0xf
	v_mov_b32_dpp v46, v32 row_bcast:31 row_mask:0xf bank_mask:0xf
	v_add_f32_e32 v47, v33, v47
	v_add_f32_e32 v46, v32, v46
	v_cndmask_b32_e64 v32, v32, v46, s[4:5]
	v_cndmask_b32_e64 v33, v33, v47, s[4:5]
	v_add_u32_e32 v46, -1, v37
	v_and_b32_e32 v47, 64, v37
	v_cmp_lt_i32_e64 s[4:5], v46, v47
	s_nop 1
	v_cndmask_b32_e64 v46, v46, v37, s[4:5]
	v_lshlrev_b32_e32 v46, 2, v46
	ds_bpermute_b32 v32, v46, v32
	ds_bpermute_b32 v33, v46, v33
	s_waitcnt lgkmcnt(0)
	v_pk_add_f32 v[32:33], v[38:39], v[32:33]
	s_nop 0
	v_cndmask_b32_e64 v33, v33, v21, s[2:3]
	v_cndmask_b32_e64 v32, v32, v20, s[2:3]
	v_pk_add_f32 v[38:39], v[40:41], v[32:33]
	ds_write2_b64 v35, v[32:33], v[38:39] offset1:1
	v_pk_add_f32 v[32:33], v[42:43], v[38:39]
	s_nop 0
	v_pk_add_f32 v[38:39], v[44:45], v[32:33]
	ds_write2_b64 v35, v[32:33], v[38:39] offset0:2 offset1:3
.LBB50_3:                               ;   in Loop: Header=BB50_1 Depth=1
	s_or_b64 exec, exec, s[8:9]
	v_mov_b64_e32 v[32:33], v[20:21]
	s_waitcnt lgkmcnt(0)
	s_barrier
	s_and_saveexec_b64 s[4:5], s[0:1]
	s_cbranch_execnz .LBB50_6
; %bb.4:                                ;   in Loop: Header=BB50_1 Depth=1
	s_or_b64 exec, exec, s[4:5]
	s_and_saveexec_b64 s[4:5], s[0:1]
	s_cbranch_execnz .LBB50_7
.LBB50_5:                               ;   in Loop: Header=BB50_1 Depth=1
	s_or_b64 exec, exec, s[4:5]
	s_add_i32 s10, s10, -1
	s_cmp_lg_u32 s10, 0
	s_cbranch_scc1 .LBB50_8
	s_branch .LBB50_9
.LBB50_6:                               ;   in Loop: Header=BB50_1 Depth=1
	ds_read_b64 v[32:33], v36
	s_or_b64 exec, exec, s[4:5]
	s_and_saveexec_b64 s[4:5], s[0:1]
	s_cbranch_execz .LBB50_5
.LBB50_7:                               ;   in Loop: Header=BB50_1 Depth=1
	s_waitcnt lgkmcnt(0)
	v_pk_add_f32 v[2:3], v[2:3], v[32:33]
	s_nop 0
	v_pk_add_f32 v[0:1], v[4:5], v[2:3]
	s_nop 0
	;; [unrolled: 2-line block ×7, first 2 shown]
	v_pk_add_f32 v[20:21], v[8:9], v[18:19]
	s_or_b64 exec, exec, s[4:5]
	s_add_i32 s10, s10, -1
	s_cmp_lg_u32 s10, 0
	s_cbranch_scc0 .LBB50_9
.LBB50_8:                               ;   in Loop: Header=BB50_1 Depth=1
	v_mov_b64_e32 v[8:9], v[20:21]
	v_mov_b64_e32 v[6:7], v[18:19]
	;; [unrolled: 1-line block ×7, first 2 shown]
	s_branch .LBB50_1
.LBB50_9:
	v_mov_b32_e32 v4, s6
	v_mov_b32_e32 v5, s7
	v_lshl_add_u64 v[6:7], v[30:31], 3, v[4:5]
	v_mov_b32_e32 v4, v0
	v_mov_b32_e32 v5, v1
	global_store_dwordx4 v[6:7], v[2:5], off
	global_store_dwordx4 v[6:7], v[26:29], off offset:16
	global_store_dwordx4 v[6:7], v[22:25], off offset:32
	;; [unrolled: 1-line block ×3, first 2 shown]
	s_endpgm
	.section	.rodata,"a",@progbits
	.p2align	6, 0x0
	.amdhsa_kernel _Z6kernelI14inclusive_scanILN6hipcub18BlockScanAlgorithmE1EEN15benchmark_utils11custom_typeIffEELj256ELj8ELj100EEvPKT0_PS7_S7_
		.amdhsa_group_segment_fixed_size 2112
		.amdhsa_private_segment_fixed_size 0
		.amdhsa_kernarg_size 280
		.amdhsa_user_sgpr_count 2
		.amdhsa_user_sgpr_dispatch_ptr 0
		.amdhsa_user_sgpr_queue_ptr 0
		.amdhsa_user_sgpr_kernarg_segment_ptr 1
		.amdhsa_user_sgpr_dispatch_id 0
		.amdhsa_user_sgpr_kernarg_preload_length 0
		.amdhsa_user_sgpr_kernarg_preload_offset 0
		.amdhsa_user_sgpr_private_segment_size 0
		.amdhsa_uses_dynamic_stack 0
		.amdhsa_enable_private_segment 0
		.amdhsa_system_sgpr_workgroup_id_x 1
		.amdhsa_system_sgpr_workgroup_id_y 0
		.amdhsa_system_sgpr_workgroup_id_z 0
		.amdhsa_system_sgpr_workgroup_info 0
		.amdhsa_system_vgpr_workitem_id 0
		.amdhsa_next_free_vgpr 49
		.amdhsa_next_free_sgpr 11
		.amdhsa_accum_offset 52
		.amdhsa_reserve_vcc 1
		.amdhsa_float_round_mode_32 0
		.amdhsa_float_round_mode_16_64 0
		.amdhsa_float_denorm_mode_32 3
		.amdhsa_float_denorm_mode_16_64 3
		.amdhsa_dx10_clamp 1
		.amdhsa_ieee_mode 1
		.amdhsa_fp16_overflow 0
		.amdhsa_tg_split 0
		.amdhsa_exception_fp_ieee_invalid_op 0
		.amdhsa_exception_fp_denorm_src 0
		.amdhsa_exception_fp_ieee_div_zero 0
		.amdhsa_exception_fp_ieee_overflow 0
		.amdhsa_exception_fp_ieee_underflow 0
		.amdhsa_exception_fp_ieee_inexact 0
		.amdhsa_exception_int_div_zero 0
	.end_amdhsa_kernel
	.section	.text._Z6kernelI14inclusive_scanILN6hipcub18BlockScanAlgorithmE1EEN15benchmark_utils11custom_typeIffEELj256ELj8ELj100EEvPKT0_PS7_S7_,"axG",@progbits,_Z6kernelI14inclusive_scanILN6hipcub18BlockScanAlgorithmE1EEN15benchmark_utils11custom_typeIffEELj256ELj8ELj100EEvPKT0_PS7_S7_,comdat
.Lfunc_end50:
	.size	_Z6kernelI14inclusive_scanILN6hipcub18BlockScanAlgorithmE1EEN15benchmark_utils11custom_typeIffEELj256ELj8ELj100EEvPKT0_PS7_S7_, .Lfunc_end50-_Z6kernelI14inclusive_scanILN6hipcub18BlockScanAlgorithmE1EEN15benchmark_utils11custom_typeIffEELj256ELj8ELj100EEvPKT0_PS7_S7_
                                        ; -- End function
	.section	.AMDGPU.csdata,"",@progbits
; Kernel info:
; codeLenInByte = 1056
; NumSgprs: 17
; NumVgprs: 49
; NumAgprs: 0
; TotalNumVgprs: 49
; ScratchSize: 0
; MemoryBound: 0
; FloatMode: 240
; IeeeMode: 1
; LDSByteSize: 2112 bytes/workgroup (compile time only)
; SGPRBlocks: 2
; VGPRBlocks: 6
; NumSGPRsForWavesPerEU: 17
; NumVGPRsForWavesPerEU: 49
; AccumOffset: 52
; Occupancy: 8
; WaveLimiterHint : 0
; COMPUTE_PGM_RSRC2:SCRATCH_EN: 0
; COMPUTE_PGM_RSRC2:USER_SGPR: 2
; COMPUTE_PGM_RSRC2:TRAP_HANDLER: 0
; COMPUTE_PGM_RSRC2:TGID_X_EN: 1
; COMPUTE_PGM_RSRC2:TGID_Y_EN: 0
; COMPUTE_PGM_RSRC2:TGID_Z_EN: 0
; COMPUTE_PGM_RSRC2:TIDIG_COMP_CNT: 0
; COMPUTE_PGM_RSRC3_GFX90A:ACCUM_OFFSET: 12
; COMPUTE_PGM_RSRC3_GFX90A:TG_SPLIT: 0
	.section	.text._Z6kernelI14inclusive_scanILN6hipcub18BlockScanAlgorithmE1EEN15benchmark_utils11custom_typeIddEELj256ELj1ELj100EEvPKT0_PS7_S7_,"axG",@progbits,_Z6kernelI14inclusive_scanILN6hipcub18BlockScanAlgorithmE1EEN15benchmark_utils11custom_typeIddEELj256ELj1ELj100EEvPKT0_PS7_S7_,comdat
	.protected	_Z6kernelI14inclusive_scanILN6hipcub18BlockScanAlgorithmE1EEN15benchmark_utils11custom_typeIddEELj256ELj1ELj100EEvPKT0_PS7_S7_ ; -- Begin function _Z6kernelI14inclusive_scanILN6hipcub18BlockScanAlgorithmE1EEN15benchmark_utils11custom_typeIddEELj256ELj1ELj100EEvPKT0_PS7_S7_
	.globl	_Z6kernelI14inclusive_scanILN6hipcub18BlockScanAlgorithmE1EEN15benchmark_utils11custom_typeIddEELj256ELj1ELj100EEvPKT0_PS7_S7_
	.p2align	8
	.type	_Z6kernelI14inclusive_scanILN6hipcub18BlockScanAlgorithmE1EEN15benchmark_utils11custom_typeIddEELj256ELj1ELj100EEvPKT0_PS7_S7_,@function
_Z6kernelI14inclusive_scanILN6hipcub18BlockScanAlgorithmE1EEN15benchmark_utils11custom_typeIddEELj256ELj1ELj100EEvPKT0_PS7_S7_: ; @_Z6kernelI14inclusive_scanILN6hipcub18BlockScanAlgorithmE1EEN15benchmark_utils11custom_typeIddEELj256ELj1ELj100EEvPKT0_PS7_S7_
; %bb.0:
	s_load_dwordx4 s[4:7], s[0:1], 0x0
	s_load_dword s3, s[0:1], 0x2c
	v_mov_b32_e32 v23, 0
	v_lshrrev_b32_e32 v1, 5, v0
	v_add_lshl_u32 v30, v1, v0, 4
	s_waitcnt lgkmcnt(0)
	v_mov_b32_e32 v2, s4
	s_and_b32 s0, s3, 0xffff
	s_mul_i32 s2, s2, s0
	v_mov_b32_e32 v3, s5
	v_add_u32_e32 v22, s2, v0
	v_lshl_add_u64 v[2:3], v[22:23], 4, v[2:3]
	global_load_dwordx4 v[2:5], v[2:3], off
	v_cmp_gt_u32_e32 vcc, 64, v0
	v_lshlrev_b32_e32 v1, 2, v0
	v_lshrrev_b32_e32 v6, 3, v0
	v_cmp_eq_u32_e64 s[0:1], 0, v0
	v_mbcnt_lo_u32_b32 v0, -1, 0
	v_mbcnt_hi_u32_b32 v32, -1, v0
	v_add_lshl_u32 v31, v6, v1, 4
	s_movk_i32 s10, 0x64
	v_and_b32_e32 v33, 15, v32
	s_branch .LBB51_3
.LBB51_1:                               ;   in Loop: Header=BB51_3 Depth=1
	s_or_b64 exec, exec, s[8:9]
	v_add_u32_e32 v26, -1, v32
	v_and_b32_e32 v27, 64, v32
	v_cmp_lt_i32_e64 s[2:3], v26, v27
	s_nop 1
	v_cndmask_b32_e64 v26, v26, v32, s[2:3]
	v_lshlrev_b32_e32 v26, 2, v26
	ds_bpermute_b32 v24, v26, v24
	ds_bpermute_b32 v25, v26, v25
	;; [unrolled: 1-line block ×4, first 2 shown]
	s_waitcnt lgkmcnt(2)
	v_add_f64 v[18:19], v[18:19], v[24:25]
	v_cndmask_b32_e64 v3, v19, v3, s[0:1]
	s_waitcnt lgkmcnt(0)
	v_add_f64 v[0:1], v[20:21], v[0:1]
	v_cndmask_b32_e64 v1, v1, v5, s[0:1]
	v_cndmask_b32_e64 v0, v0, v4, s[0:1]
	;; [unrolled: 1-line block ×3, first 2 shown]
	ds_write2_b64 v31, v[2:3], v[0:1] offset1:1
	v_add_f64 v[2:3], v[10:11], v[2:3]
	v_add_f64 v[0:1], v[12:13], v[0:1]
	ds_write2_b64 v31, v[2:3], v[0:1] offset0:2 offset1:3
	v_add_f64 v[2:3], v[14:15], v[2:3]
	v_add_f64 v[0:1], v[16:17], v[0:1]
	ds_write2_b64 v31, v[2:3], v[0:1] offset0:4 offset1:5
	;; [unrolled: 3-line block ×3, first 2 shown]
.LBB51_2:                               ;   in Loop: Header=BB51_3 Depth=1
	s_or_b64 exec, exec, s[4:5]
	s_waitcnt lgkmcnt(0)
	s_barrier
	ds_read2_b64 v[2:5], v30 offset1:1
	s_add_i32 s10, s10, -1
	s_cmp_lg_u32 s10, 0
	s_cbranch_scc0 .LBB51_16
.LBB51_3:                               ; =>This Inner Loop Header: Depth=1
	s_waitcnt vmcnt(0) lgkmcnt(0)
	ds_write2_b64 v30, v[2:3], v[4:5] offset1:1
	s_waitcnt lgkmcnt(0)
	s_barrier
	s_and_saveexec_b64 s[4:5], vcc
	s_cbranch_execz .LBB51_2
; %bb.4:                                ;   in Loop: Header=BB51_3 Depth=1
	ds_read2_b64 v[18:21], v31 offset1:1
	ds_read2_b64 v[10:13], v31 offset0:2 offset1:3
	ds_read2_b64 v[14:17], v31 offset0:4 offset1:5
	;; [unrolled: 1-line block ×3, first 2 shown]
	v_cmp_ne_u32_e64 s[2:3], 0, v33
	s_waitcnt lgkmcnt(2)
	v_add_f64 v[0:1], v[20:21], v[12:13]
	v_add_f64 v[24:25], v[18:19], v[10:11]
	s_waitcnt lgkmcnt(1)
	v_add_f64 v[24:25], v[24:25], v[14:15]
	v_add_f64 v[0:1], v[0:1], v[16:17]
	;; [unrolled: 3-line block ×3, first 2 shown]
	s_nop 0
	v_mov_b32_dpp v28, v0 row_shr:1 row_mask:0xf bank_mask:0xf
	v_mov_b32_dpp v26, v24 row_shr:1 row_mask:0xf bank_mask:0xf
	;; [unrolled: 1-line block ×4, first 2 shown]
	s_and_saveexec_b64 s[8:9], s[2:3]
; %bb.5:                                ;   in Loop: Header=BB51_3 Depth=1
	v_add_f64 v[0:1], v[0:1], v[28:29]
	v_add_f64 v[24:25], v[24:25], v[26:27]
; %bb.6:                                ;   in Loop: Header=BB51_3 Depth=1
	s_or_b64 exec, exec, s[8:9]
	s_nop 0
	v_mov_b32_dpp v26, v24 row_shr:2 row_mask:0xf bank_mask:0xf
	v_mov_b32_dpp v27, v25 row_shr:2 row_mask:0xf bank_mask:0xf
	;; [unrolled: 1-line block ×4, first 2 shown]
	v_cmp_lt_u32_e64 s[2:3], 1, v33
	s_and_saveexec_b64 s[8:9], s[2:3]
; %bb.7:                                ;   in Loop: Header=BB51_3 Depth=1
	v_add_f64 v[0:1], v[0:1], v[28:29]
	v_add_f64 v[24:25], v[24:25], v[26:27]
; %bb.8:                                ;   in Loop: Header=BB51_3 Depth=1
	s_or_b64 exec, exec, s[8:9]
	s_nop 0
	v_mov_b32_dpp v26, v24 row_shr:4 row_mask:0xf bank_mask:0xf
	v_mov_b32_dpp v27, v25 row_shr:4 row_mask:0xf bank_mask:0xf
	;; [unrolled: 1-line block ×4, first 2 shown]
	v_cmp_lt_u32_e64 s[2:3], 3, v33
	s_and_saveexec_b64 s[8:9], s[2:3]
; %bb.9:                                ;   in Loop: Header=BB51_3 Depth=1
	v_add_f64 v[0:1], v[0:1], v[28:29]
	v_add_f64 v[24:25], v[24:25], v[26:27]
; %bb.10:                               ;   in Loop: Header=BB51_3 Depth=1
	s_or_b64 exec, exec, s[8:9]
	s_nop 0
	v_mov_b32_dpp v26, v24 row_shr:8 row_mask:0xf bank_mask:0xf
	v_mov_b32_dpp v27, v25 row_shr:8 row_mask:0xf bank_mask:0xf
	;; [unrolled: 1-line block ×4, first 2 shown]
	v_cmp_lt_u32_e64 s[2:3], 7, v33
	s_and_saveexec_b64 s[8:9], s[2:3]
; %bb.11:                               ;   in Loop: Header=BB51_3 Depth=1
	v_add_f64 v[0:1], v[0:1], v[28:29]
	v_add_f64 v[24:25], v[24:25], v[26:27]
; %bb.12:                               ;   in Loop: Header=BB51_3 Depth=1
	s_or_b64 exec, exec, s[8:9]
	v_and_b32_e32 v34, 16, v32
	v_mov_b32_dpp v26, v24 row_bcast:15 row_mask:0xf bank_mask:0xf
	v_mov_b32_dpp v27, v25 row_bcast:15 row_mask:0xf bank_mask:0xf
	v_mov_b32_dpp v28, v0 row_bcast:15 row_mask:0xf bank_mask:0xf
	v_mov_b32_dpp v29, v1 row_bcast:15 row_mask:0xf bank_mask:0xf
	v_cmp_ne_u32_e64 s[2:3], 0, v34
	s_and_saveexec_b64 s[8:9], s[2:3]
; %bb.13:                               ;   in Loop: Header=BB51_3 Depth=1
	v_add_f64 v[0:1], v[0:1], v[28:29]
	v_add_f64 v[24:25], v[24:25], v[26:27]
; %bb.14:                               ;   in Loop: Header=BB51_3 Depth=1
	s_or_b64 exec, exec, s[8:9]
	s_nop 0
	v_mov_b32_dpp v26, v24 row_bcast:31 row_mask:0xf bank_mask:0xf
	v_mov_b32_dpp v27, v25 row_bcast:31 row_mask:0xf bank_mask:0xf
	;; [unrolled: 1-line block ×4, first 2 shown]
	v_cmp_lt_u32_e64 s[2:3], 31, v32
	s_and_saveexec_b64 s[8:9], s[2:3]
	s_cbranch_execz .LBB51_1
; %bb.15:                               ;   in Loop: Header=BB51_3 Depth=1
	v_add_f64 v[0:1], v[0:1], v[28:29]
	v_add_f64 v[24:25], v[24:25], v[26:27]
	s_branch .LBB51_1
.LBB51_16:
	v_mov_b32_e32 v0, s6
	v_mov_b32_e32 v1, s7
	v_lshl_add_u64 v[0:1], v[22:23], 4, v[0:1]
	s_waitcnt lgkmcnt(0)
	global_store_dwordx4 v[0:1], v[2:5], off
	s_endpgm
	.section	.rodata,"a",@progbits
	.p2align	6, 0x0
	.amdhsa_kernel _Z6kernelI14inclusive_scanILN6hipcub18BlockScanAlgorithmE1EEN15benchmark_utils11custom_typeIddEELj256ELj1ELj100EEvPKT0_PS7_S7_
		.amdhsa_group_segment_fixed_size 4224
		.amdhsa_private_segment_fixed_size 0
		.amdhsa_kernarg_size 288
		.amdhsa_user_sgpr_count 2
		.amdhsa_user_sgpr_dispatch_ptr 0
		.amdhsa_user_sgpr_queue_ptr 0
		.amdhsa_user_sgpr_kernarg_segment_ptr 1
		.amdhsa_user_sgpr_dispatch_id 0
		.amdhsa_user_sgpr_kernarg_preload_length 0
		.amdhsa_user_sgpr_kernarg_preload_offset 0
		.amdhsa_user_sgpr_private_segment_size 0
		.amdhsa_uses_dynamic_stack 0
		.amdhsa_enable_private_segment 0
		.amdhsa_system_sgpr_workgroup_id_x 1
		.amdhsa_system_sgpr_workgroup_id_y 0
		.amdhsa_system_sgpr_workgroup_id_z 0
		.amdhsa_system_sgpr_workgroup_info 0
		.amdhsa_system_vgpr_workitem_id 0
		.amdhsa_next_free_vgpr 35
		.amdhsa_next_free_sgpr 11
		.amdhsa_accum_offset 36
		.amdhsa_reserve_vcc 1
		.amdhsa_float_round_mode_32 0
		.amdhsa_float_round_mode_16_64 0
		.amdhsa_float_denorm_mode_32 3
		.amdhsa_float_denorm_mode_16_64 3
		.amdhsa_dx10_clamp 1
		.amdhsa_ieee_mode 1
		.amdhsa_fp16_overflow 0
		.amdhsa_tg_split 0
		.amdhsa_exception_fp_ieee_invalid_op 0
		.amdhsa_exception_fp_denorm_src 0
		.amdhsa_exception_fp_ieee_div_zero 0
		.amdhsa_exception_fp_ieee_overflow 0
		.amdhsa_exception_fp_ieee_underflow 0
		.amdhsa_exception_fp_ieee_inexact 0
		.amdhsa_exception_int_div_zero 0
	.end_amdhsa_kernel
	.section	.text._Z6kernelI14inclusive_scanILN6hipcub18BlockScanAlgorithmE1EEN15benchmark_utils11custom_typeIddEELj256ELj1ELj100EEvPKT0_PS7_S7_,"axG",@progbits,_Z6kernelI14inclusive_scanILN6hipcub18BlockScanAlgorithmE1EEN15benchmark_utils11custom_typeIddEELj256ELj1ELj100EEvPKT0_PS7_S7_,comdat
.Lfunc_end51:
	.size	_Z6kernelI14inclusive_scanILN6hipcub18BlockScanAlgorithmE1EEN15benchmark_utils11custom_typeIddEELj256ELj1ELj100EEvPKT0_PS7_S7_, .Lfunc_end51-_Z6kernelI14inclusive_scanILN6hipcub18BlockScanAlgorithmE1EEN15benchmark_utils11custom_typeIddEELj256ELj1ELj100EEvPKT0_PS7_S7_
                                        ; -- End function
	.section	.AMDGPU.csdata,"",@progbits
; Kernel info:
; codeLenInByte = 932
; NumSgprs: 17
; NumVgprs: 35
; NumAgprs: 0
; TotalNumVgprs: 35
; ScratchSize: 0
; MemoryBound: 0
; FloatMode: 240
; IeeeMode: 1
; LDSByteSize: 4224 bytes/workgroup (compile time only)
; SGPRBlocks: 2
; VGPRBlocks: 4
; NumSGPRsForWavesPerEU: 17
; NumVGPRsForWavesPerEU: 35
; AccumOffset: 36
; Occupancy: 8
; WaveLimiterHint : 0
; COMPUTE_PGM_RSRC2:SCRATCH_EN: 0
; COMPUTE_PGM_RSRC2:USER_SGPR: 2
; COMPUTE_PGM_RSRC2:TRAP_HANDLER: 0
; COMPUTE_PGM_RSRC2:TGID_X_EN: 1
; COMPUTE_PGM_RSRC2:TGID_Y_EN: 0
; COMPUTE_PGM_RSRC2:TGID_Z_EN: 0
; COMPUTE_PGM_RSRC2:TIDIG_COMP_CNT: 0
; COMPUTE_PGM_RSRC3_GFX90A:ACCUM_OFFSET: 8
; COMPUTE_PGM_RSRC3_GFX90A:TG_SPLIT: 0
	.section	.text._Z6kernelI14inclusive_scanILN6hipcub18BlockScanAlgorithmE1EEN15benchmark_utils11custom_typeIddEELj256ELj4ELj100EEvPKT0_PS7_S7_,"axG",@progbits,_Z6kernelI14inclusive_scanILN6hipcub18BlockScanAlgorithmE1EEN15benchmark_utils11custom_typeIddEELj256ELj4ELj100EEvPKT0_PS7_S7_,comdat
	.protected	_Z6kernelI14inclusive_scanILN6hipcub18BlockScanAlgorithmE1EEN15benchmark_utils11custom_typeIddEELj256ELj4ELj100EEvPKT0_PS7_S7_ ; -- Begin function _Z6kernelI14inclusive_scanILN6hipcub18BlockScanAlgorithmE1EEN15benchmark_utils11custom_typeIddEELj256ELj4ELj100EEvPKT0_PS7_S7_
	.globl	_Z6kernelI14inclusive_scanILN6hipcub18BlockScanAlgorithmE1EEN15benchmark_utils11custom_typeIddEELj256ELj4ELj100EEvPKT0_PS7_S7_
	.p2align	8
	.type	_Z6kernelI14inclusive_scanILN6hipcub18BlockScanAlgorithmE1EEN15benchmark_utils11custom_typeIddEELj256ELj4ELj100EEvPKT0_PS7_S7_,@function
_Z6kernelI14inclusive_scanILN6hipcub18BlockScanAlgorithmE1EEN15benchmark_utils11custom_typeIddEELj256ELj4ELj100EEvPKT0_PS7_S7_: ; @_Z6kernelI14inclusive_scanILN6hipcub18BlockScanAlgorithmE1EEN15benchmark_utils11custom_typeIddEELj256ELj4ELj100EEvPKT0_PS7_S7_
; %bb.0:
	s_load_dwordx4 s[4:7], s[0:1], 0x0
	s_load_dword s3, s[0:1], 0x2c
	v_mov_b32_e32 v47, 0
	v_lshrrev_b32_e32 v1, 5, v0
	v_add_lshl_u32 v54, v1, v0, 4
	s_waitcnt lgkmcnt(0)
	v_mov_b32_e32 v2, s4
	s_and_b32 s0, s3, 0xffff
	s_mul_i32 s2, s2, s0
	v_mov_b32_e32 v3, s5
	v_add_lshl_u32 v46, s2, v0, 2
	v_lshl_add_u64 v[18:19], v[46:47], 4, v[2:3]
	global_load_dwordx4 v[6:9], v[18:19], off offset:48
	global_load_dwordx4 v[10:13], v[18:19], off offset:32
	;; [unrolled: 1-line block ×3, first 2 shown]
	global_load_dwordx4 v[2:5], v[18:19], off
	v_cmp_gt_u32_e32 vcc, 64, v0
	v_cmp_eq_u32_e64 s[0:1], 0, v0
	v_cmp_ne_u32_e64 s[2:3], 0, v0
	v_lshlrev_b32_e32 v1, 2, v0
	v_lshrrev_b32_e32 v18, 3, v0
	v_add_u32_e32 v0, -1, v0
	v_add_lshl_u32 v55, v18, v1, 4
	v_lshrrev_b32_e32 v1, 5, v0
	v_add_lshl_u32 v56, v1, v0, 4
	v_mbcnt_lo_u32_b32 v0, -1, 0
	s_movk_i32 s12, 0x64
	v_mbcnt_hi_u32_b32 v57, -1, v0
.LBB52_1:                               ; =>This Inner Loop Header: Depth=1
	s_waitcnt vmcnt(0)
	v_add_f64 v[26:27], v[14:15], v[2:3]
	v_add_f64 v[28:29], v[16:17], v[4:5]
	v_add_f64 v[22:23], v[10:11], v[26:27]
	v_add_f64 v[24:25], v[12:13], v[28:29]
	v_add_f64 v[18:19], v[6:7], v[22:23]
	v_add_f64 v[20:21], v[8:9], v[24:25]
	ds_write2_b64 v54, v[18:19], v[20:21] offset1:1
	s_waitcnt lgkmcnt(0)
	s_barrier
	s_and_saveexec_b64 s[8:9], vcc
	s_cbranch_execz .LBB52_15
; %bb.2:                                ;   in Loop: Header=BB52_1 Depth=1
	ds_read2_b64 v[42:45], v55 offset1:1
	ds_read2_b64 v[34:37], v55 offset0:2 offset1:3
	ds_read2_b64 v[38:41], v55 offset0:4 offset1:5
	;; [unrolled: 1-line block ×3, first 2 shown]
	v_and_b32_e32 v58, 15, v57
	v_cmp_ne_u32_e64 s[4:5], 0, v58
	s_waitcnt lgkmcnt(2)
	v_add_f64 v[0:1], v[44:45], v[36:37]
	v_add_f64 v[48:49], v[42:43], v[34:35]
	s_waitcnt lgkmcnt(1)
	v_add_f64 v[48:49], v[48:49], v[38:39]
	v_add_f64 v[0:1], v[0:1], v[40:41]
	;; [unrolled: 3-line block ×3, first 2 shown]
	s_nop 0
	v_mov_b32_dpp v52, v0 row_shr:1 row_mask:0xf bank_mask:0xf
	v_mov_b32_dpp v50, v48 row_shr:1 row_mask:0xf bank_mask:0xf
	;; [unrolled: 1-line block ×4, first 2 shown]
	s_and_saveexec_b64 s[10:11], s[4:5]
; %bb.3:                                ;   in Loop: Header=BB52_1 Depth=1
	v_add_f64 v[0:1], v[0:1], v[52:53]
	v_add_f64 v[48:49], v[48:49], v[50:51]
; %bb.4:                                ;   in Loop: Header=BB52_1 Depth=1
	s_or_b64 exec, exec, s[10:11]
	s_nop 0
	v_mov_b32_dpp v50, v48 row_shr:2 row_mask:0xf bank_mask:0xf
	v_mov_b32_dpp v51, v49 row_shr:2 row_mask:0xf bank_mask:0xf
	v_mov_b32_dpp v52, v0 row_shr:2 row_mask:0xf bank_mask:0xf
	v_mov_b32_dpp v53, v1 row_shr:2 row_mask:0xf bank_mask:0xf
	v_cmp_lt_u32_e64 s[4:5], 1, v58
	s_and_saveexec_b64 s[10:11], s[4:5]
; %bb.5:                                ;   in Loop: Header=BB52_1 Depth=1
	v_add_f64 v[0:1], v[0:1], v[52:53]
	v_add_f64 v[48:49], v[48:49], v[50:51]
; %bb.6:                                ;   in Loop: Header=BB52_1 Depth=1
	s_or_b64 exec, exec, s[10:11]
	s_nop 0
	v_mov_b32_dpp v50, v48 row_shr:4 row_mask:0xf bank_mask:0xf
	v_mov_b32_dpp v51, v49 row_shr:4 row_mask:0xf bank_mask:0xf
	v_mov_b32_dpp v52, v0 row_shr:4 row_mask:0xf bank_mask:0xf
	v_mov_b32_dpp v53, v1 row_shr:4 row_mask:0xf bank_mask:0xf
	v_cmp_lt_u32_e64 s[4:5], 3, v58
	;; [unrolled: 12-line block ×3, first 2 shown]
	s_and_saveexec_b64 s[10:11], s[4:5]
; %bb.9:                                ;   in Loop: Header=BB52_1 Depth=1
	v_add_f64 v[0:1], v[0:1], v[52:53]
	v_add_f64 v[48:49], v[48:49], v[50:51]
; %bb.10:                               ;   in Loop: Header=BB52_1 Depth=1
	s_or_b64 exec, exec, s[10:11]
	v_and_b32_e32 v58, 16, v57
	v_mov_b32_dpp v50, v48 row_bcast:15 row_mask:0xf bank_mask:0xf
	v_mov_b32_dpp v51, v49 row_bcast:15 row_mask:0xf bank_mask:0xf
	;; [unrolled: 1-line block ×4, first 2 shown]
	v_cmp_ne_u32_e64 s[4:5], 0, v58
	s_and_saveexec_b64 s[10:11], s[4:5]
; %bb.11:                               ;   in Loop: Header=BB52_1 Depth=1
	v_add_f64 v[0:1], v[0:1], v[52:53]
	v_add_f64 v[48:49], v[48:49], v[50:51]
; %bb.12:                               ;   in Loop: Header=BB52_1 Depth=1
	s_or_b64 exec, exec, s[10:11]
	s_nop 0
	v_mov_b32_dpp v50, v48 row_bcast:31 row_mask:0xf bank_mask:0xf
	v_mov_b32_dpp v51, v49 row_bcast:31 row_mask:0xf bank_mask:0xf
	v_mov_b32_dpp v52, v0 row_bcast:31 row_mask:0xf bank_mask:0xf
	v_mov_b32_dpp v53, v1 row_bcast:31 row_mask:0xf bank_mask:0xf
	v_cmp_lt_u32_e64 s[4:5], 31, v57
	s_and_saveexec_b64 s[10:11], s[4:5]
; %bb.13:                               ;   in Loop: Header=BB52_1 Depth=1
	v_add_f64 v[0:1], v[0:1], v[52:53]
	v_add_f64 v[48:49], v[48:49], v[50:51]
; %bb.14:                               ;   in Loop: Header=BB52_1 Depth=1
	s_or_b64 exec, exec, s[10:11]
	v_add_u32_e32 v50, -1, v57
	v_and_b32_e32 v51, 64, v57
	v_cmp_lt_i32_e64 s[4:5], v50, v51
	s_nop 1
	v_cndmask_b32_e64 v50, v50, v57, s[4:5]
	v_lshlrev_b32_e32 v50, 2, v50
	ds_bpermute_b32 v48, v50, v48
	ds_bpermute_b32 v49, v50, v49
	;; [unrolled: 1-line block ×4, first 2 shown]
	s_waitcnt lgkmcnt(2)
	v_add_f64 v[42:43], v[42:43], v[48:49]
	v_cndmask_b32_e64 v43, v43, v19, s[0:1]
	s_waitcnt lgkmcnt(0)
	v_add_f64 v[0:1], v[44:45], v[0:1]
	v_cndmask_b32_e64 v1, v1, v21, s[0:1]
	v_cndmask_b32_e64 v0, v0, v20, s[0:1]
	;; [unrolled: 1-line block ×3, first 2 shown]
	ds_write2_b64 v55, v[42:43], v[0:1] offset1:1
	v_add_f64 v[34:35], v[34:35], v[42:43]
	v_add_f64 v[0:1], v[36:37], v[0:1]
	ds_write2_b64 v55, v[34:35], v[0:1] offset0:2 offset1:3
	v_add_f64 v[34:35], v[38:39], v[34:35]
	v_add_f64 v[0:1], v[40:41], v[0:1]
	ds_write2_b64 v55, v[34:35], v[0:1] offset0:4 offset1:5
	;; [unrolled: 3-line block ×3, first 2 shown]
.LBB52_15:                              ;   in Loop: Header=BB52_1 Depth=1
	s_or_b64 exec, exec, s[8:9]
	v_mov_b64_e32 v[30:31], v[18:19]
	v_mov_b64_e32 v[32:33], v[20:21]
	s_waitcnt lgkmcnt(0)
	s_barrier
	s_and_saveexec_b64 s[4:5], s[2:3]
	s_cbranch_execnz .LBB52_18
; %bb.16:                               ;   in Loop: Header=BB52_1 Depth=1
	s_or_b64 exec, exec, s[4:5]
	s_and_saveexec_b64 s[4:5], s[2:3]
	s_cbranch_execnz .LBB52_19
.LBB52_17:                              ;   in Loop: Header=BB52_1 Depth=1
	s_or_b64 exec, exec, s[4:5]
	s_add_i32 s12, s12, -1
	s_cmp_lg_u32 s12, 0
	s_cbranch_scc1 .LBB52_20
	s_branch .LBB52_21
.LBB52_18:                              ;   in Loop: Header=BB52_1 Depth=1
	ds_read2_b64 v[30:33], v56 offset1:1
	s_or_b64 exec, exec, s[4:5]
	s_and_saveexec_b64 s[4:5], s[2:3]
	s_cbranch_execz .LBB52_17
.LBB52_19:                              ;   in Loop: Header=BB52_1 Depth=1
	s_waitcnt lgkmcnt(0)
	v_add_f64 v[4:5], v[4:5], v[32:33]
	v_add_f64 v[2:3], v[2:3], v[30:31]
	;; [unrolled: 1-line block ×8, first 2 shown]
	s_or_b64 exec, exec, s[4:5]
	s_add_i32 s12, s12, -1
	s_cmp_lg_u32 s12, 0
	s_cbranch_scc0 .LBB52_21
.LBB52_20:                              ;   in Loop: Header=BB52_1 Depth=1
	v_mov_b64_e32 v[8:9], v[20:21]
	v_mov_b64_e32 v[6:7], v[18:19]
	;; [unrolled: 1-line block ×6, first 2 shown]
	s_branch .LBB52_1
.LBB52_21:
	v_mov_b32_e32 v0, s6
	v_mov_b32_e32 v1, s7
	v_lshl_add_u64 v[0:1], v[46:47], 4, v[0:1]
	global_store_dwordx4 v[0:1], v[2:5], off
	global_store_dwordx4 v[0:1], v[26:29], off offset:16
	global_store_dwordx4 v[0:1], v[22:25], off offset:32
	;; [unrolled: 1-line block ×3, first 2 shown]
	s_endpgm
	.section	.rodata,"a",@progbits
	.p2align	6, 0x0
	.amdhsa_kernel _Z6kernelI14inclusive_scanILN6hipcub18BlockScanAlgorithmE1EEN15benchmark_utils11custom_typeIddEELj256ELj4ELj100EEvPKT0_PS7_S7_
		.amdhsa_group_segment_fixed_size 4224
		.amdhsa_private_segment_fixed_size 0
		.amdhsa_kernarg_size 288
		.amdhsa_user_sgpr_count 2
		.amdhsa_user_sgpr_dispatch_ptr 0
		.amdhsa_user_sgpr_queue_ptr 0
		.amdhsa_user_sgpr_kernarg_segment_ptr 1
		.amdhsa_user_sgpr_dispatch_id 0
		.amdhsa_user_sgpr_kernarg_preload_length 0
		.amdhsa_user_sgpr_kernarg_preload_offset 0
		.amdhsa_user_sgpr_private_segment_size 0
		.amdhsa_uses_dynamic_stack 0
		.amdhsa_enable_private_segment 0
		.amdhsa_system_sgpr_workgroup_id_x 1
		.amdhsa_system_sgpr_workgroup_id_y 0
		.amdhsa_system_sgpr_workgroup_id_z 0
		.amdhsa_system_sgpr_workgroup_info 0
		.amdhsa_system_vgpr_workitem_id 0
		.amdhsa_next_free_vgpr 59
		.amdhsa_next_free_sgpr 13
		.amdhsa_accum_offset 60
		.amdhsa_reserve_vcc 1
		.amdhsa_float_round_mode_32 0
		.amdhsa_float_round_mode_16_64 0
		.amdhsa_float_denorm_mode_32 3
		.amdhsa_float_denorm_mode_16_64 3
		.amdhsa_dx10_clamp 1
		.amdhsa_ieee_mode 1
		.amdhsa_fp16_overflow 0
		.amdhsa_tg_split 0
		.amdhsa_exception_fp_ieee_invalid_op 0
		.amdhsa_exception_fp_denorm_src 0
		.amdhsa_exception_fp_ieee_div_zero 0
		.amdhsa_exception_fp_ieee_overflow 0
		.amdhsa_exception_fp_ieee_underflow 0
		.amdhsa_exception_fp_ieee_inexact 0
		.amdhsa_exception_int_div_zero 0
	.end_amdhsa_kernel
	.section	.text._Z6kernelI14inclusive_scanILN6hipcub18BlockScanAlgorithmE1EEN15benchmark_utils11custom_typeIddEELj256ELj4ELj100EEvPKT0_PS7_S7_,"axG",@progbits,_Z6kernelI14inclusive_scanILN6hipcub18BlockScanAlgorithmE1EEN15benchmark_utils11custom_typeIddEELj256ELj4ELj100EEvPKT0_PS7_S7_,comdat
.Lfunc_end52:
	.size	_Z6kernelI14inclusive_scanILN6hipcub18BlockScanAlgorithmE1EEN15benchmark_utils11custom_typeIddEELj256ELj4ELj100EEvPKT0_PS7_S7_, .Lfunc_end52-_Z6kernelI14inclusive_scanILN6hipcub18BlockScanAlgorithmE1EEN15benchmark_utils11custom_typeIddEELj256ELj4ELj100EEvPKT0_PS7_S7_
                                        ; -- End function
	.section	.AMDGPU.csdata,"",@progbits
; Kernel info:
; codeLenInByte = 1200
; NumSgprs: 19
; NumVgprs: 59
; NumAgprs: 0
; TotalNumVgprs: 59
; ScratchSize: 0
; MemoryBound: 0
; FloatMode: 240
; IeeeMode: 1
; LDSByteSize: 4224 bytes/workgroup (compile time only)
; SGPRBlocks: 2
; VGPRBlocks: 7
; NumSGPRsForWavesPerEU: 19
; NumVGPRsForWavesPerEU: 59
; AccumOffset: 60
; Occupancy: 8
; WaveLimiterHint : 0
; COMPUTE_PGM_RSRC2:SCRATCH_EN: 0
; COMPUTE_PGM_RSRC2:USER_SGPR: 2
; COMPUTE_PGM_RSRC2:TRAP_HANDLER: 0
; COMPUTE_PGM_RSRC2:TGID_X_EN: 1
; COMPUTE_PGM_RSRC2:TGID_Y_EN: 0
; COMPUTE_PGM_RSRC2:TGID_Z_EN: 0
; COMPUTE_PGM_RSRC2:TIDIG_COMP_CNT: 0
; COMPUTE_PGM_RSRC3_GFX90A:ACCUM_OFFSET: 14
; COMPUTE_PGM_RSRC3_GFX90A:TG_SPLIT: 0
	.section	.text._Z6kernelI14inclusive_scanILN6hipcub18BlockScanAlgorithmE1EEN15benchmark_utils11custom_typeIddEELj256ELj8ELj100EEvPKT0_PS7_S7_,"axG",@progbits,_Z6kernelI14inclusive_scanILN6hipcub18BlockScanAlgorithmE1EEN15benchmark_utils11custom_typeIddEELj256ELj8ELj100EEvPKT0_PS7_S7_,comdat
	.protected	_Z6kernelI14inclusive_scanILN6hipcub18BlockScanAlgorithmE1EEN15benchmark_utils11custom_typeIddEELj256ELj8ELj100EEvPKT0_PS7_S7_ ; -- Begin function _Z6kernelI14inclusive_scanILN6hipcub18BlockScanAlgorithmE1EEN15benchmark_utils11custom_typeIddEELj256ELj8ELj100EEvPKT0_PS7_S7_
	.globl	_Z6kernelI14inclusive_scanILN6hipcub18BlockScanAlgorithmE1EEN15benchmark_utils11custom_typeIddEELj256ELj8ELj100EEvPKT0_PS7_S7_
	.p2align	8
	.type	_Z6kernelI14inclusive_scanILN6hipcub18BlockScanAlgorithmE1EEN15benchmark_utils11custom_typeIddEELj256ELj8ELj100EEvPKT0_PS7_S7_,@function
_Z6kernelI14inclusive_scanILN6hipcub18BlockScanAlgorithmE1EEN15benchmark_utils11custom_typeIddEELj256ELj8ELj100EEvPKT0_PS7_S7_: ; @_Z6kernelI14inclusive_scanILN6hipcub18BlockScanAlgorithmE1EEN15benchmark_utils11custom_typeIddEELj256ELj8ELj100EEvPKT0_PS7_S7_
; %bb.0:
	s_load_dwordx4 s[4:7], s[0:1], 0x0
	s_load_dword s3, s[0:1], 0x2c
	v_mov_b32_e32 v79, 0
	v_lshrrev_b32_e32 v1, 5, v0
	v_add_lshl_u32 v86, v1, v0, 4
	s_waitcnt lgkmcnt(0)
	v_mov_b32_e32 v2, s4
	s_and_b32 s0, s3, 0xffff
	s_mul_i32 s2, s2, s0
	v_mov_b32_e32 v3, s5
	v_add_lshl_u32 v78, s2, v0, 3
	v_lshl_add_u64 v[30:31], v[78:79], 4, v[2:3]
	global_load_dwordx4 v[6:9], v[30:31], off offset:48
	global_load_dwordx4 v[10:13], v[30:31], off offset:32
	;; [unrolled: 1-line block ×3, first 2 shown]
	global_load_dwordx4 v[2:5], v[30:31], off
	global_load_dwordx4 v[18:21], v[30:31], off offset:112
	global_load_dwordx4 v[22:25], v[30:31], off offset:96
	;; [unrolled: 1-line block ×4, first 2 shown]
	v_cmp_gt_u32_e32 vcc, 64, v0
	v_cmp_eq_u32_e64 s[0:1], 0, v0
	v_cmp_ne_u32_e64 s[2:3], 0, v0
	v_lshlrev_b32_e32 v1, 2, v0
	v_lshrrev_b32_e32 v30, 3, v0
	v_add_u32_e32 v0, -1, v0
	v_add_lshl_u32 v87, v30, v1, 4
	v_lshrrev_b32_e32 v1, 5, v0
	v_add_lshl_u32 v88, v1, v0, 4
	v_mbcnt_lo_u32_b32 v0, -1, 0
	s_movk_i32 s12, 0x64
	v_mbcnt_hi_u32_b32 v89, -1, v0
.LBB53_1:                               ; =>This Inner Loop Header: Depth=1
	s_waitcnt vmcnt(4)
	v_add_f64 v[58:59], v[14:15], v[2:3]
	v_add_f64 v[60:61], v[16:17], v[4:5]
	;; [unrolled: 1-line block ×6, first 2 shown]
	s_waitcnt vmcnt(0)
	v_add_f64 v[46:47], v[42:43], v[50:51]
	v_add_f64 v[48:49], v[44:45], v[52:53]
	;; [unrolled: 1-line block ×8, first 2 shown]
	ds_write2_b64 v86, v[30:31], v[32:33] offset1:1
	s_waitcnt lgkmcnt(0)
	s_barrier
	s_and_saveexec_b64 s[8:9], vcc
	s_cbranch_execz .LBB53_15
; %bb.2:                                ;   in Loop: Header=BB53_1 Depth=1
	ds_read2_b64 v[74:77], v87 offset1:1
	ds_read2_b64 v[66:69], v87 offset0:2 offset1:3
	ds_read2_b64 v[70:73], v87 offset0:4 offset1:5
	;; [unrolled: 1-line block ×3, first 2 shown]
	v_and_b32_e32 v90, 15, v89
	v_cmp_ne_u32_e64 s[4:5], 0, v90
	s_waitcnt lgkmcnt(2)
	v_add_f64 v[0:1], v[76:77], v[68:69]
	v_add_f64 v[80:81], v[74:75], v[66:67]
	s_waitcnt lgkmcnt(1)
	v_add_f64 v[80:81], v[80:81], v[70:71]
	v_add_f64 v[0:1], v[0:1], v[72:73]
	;; [unrolled: 3-line block ×3, first 2 shown]
	s_nop 0
	v_mov_b32_dpp v84, v0 row_shr:1 row_mask:0xf bank_mask:0xf
	v_mov_b32_dpp v82, v80 row_shr:1 row_mask:0xf bank_mask:0xf
	v_mov_b32_dpp v83, v81 row_shr:1 row_mask:0xf bank_mask:0xf
	v_mov_b32_dpp v85, v1 row_shr:1 row_mask:0xf bank_mask:0xf
	s_and_saveexec_b64 s[10:11], s[4:5]
; %bb.3:                                ;   in Loop: Header=BB53_1 Depth=1
	v_add_f64 v[0:1], v[0:1], v[84:85]
	v_add_f64 v[80:81], v[80:81], v[82:83]
; %bb.4:                                ;   in Loop: Header=BB53_1 Depth=1
	s_or_b64 exec, exec, s[10:11]
	s_nop 0
	v_mov_b32_dpp v82, v80 row_shr:2 row_mask:0xf bank_mask:0xf
	v_mov_b32_dpp v83, v81 row_shr:2 row_mask:0xf bank_mask:0xf
	v_mov_b32_dpp v84, v0 row_shr:2 row_mask:0xf bank_mask:0xf
	v_mov_b32_dpp v85, v1 row_shr:2 row_mask:0xf bank_mask:0xf
	v_cmp_lt_u32_e64 s[4:5], 1, v90
	s_and_saveexec_b64 s[10:11], s[4:5]
; %bb.5:                                ;   in Loop: Header=BB53_1 Depth=1
	v_add_f64 v[0:1], v[0:1], v[84:85]
	v_add_f64 v[80:81], v[80:81], v[82:83]
; %bb.6:                                ;   in Loop: Header=BB53_1 Depth=1
	s_or_b64 exec, exec, s[10:11]
	s_nop 0
	v_mov_b32_dpp v82, v80 row_shr:4 row_mask:0xf bank_mask:0xf
	v_mov_b32_dpp v83, v81 row_shr:4 row_mask:0xf bank_mask:0xf
	v_mov_b32_dpp v84, v0 row_shr:4 row_mask:0xf bank_mask:0xf
	v_mov_b32_dpp v85, v1 row_shr:4 row_mask:0xf bank_mask:0xf
	v_cmp_lt_u32_e64 s[4:5], 3, v90
	;; [unrolled: 12-line block ×3, first 2 shown]
	s_and_saveexec_b64 s[10:11], s[4:5]
; %bb.9:                                ;   in Loop: Header=BB53_1 Depth=1
	v_add_f64 v[0:1], v[0:1], v[84:85]
	v_add_f64 v[80:81], v[80:81], v[82:83]
; %bb.10:                               ;   in Loop: Header=BB53_1 Depth=1
	s_or_b64 exec, exec, s[10:11]
	v_and_b32_e32 v90, 16, v89
	v_mov_b32_dpp v82, v80 row_bcast:15 row_mask:0xf bank_mask:0xf
	v_mov_b32_dpp v83, v81 row_bcast:15 row_mask:0xf bank_mask:0xf
	;; [unrolled: 1-line block ×4, first 2 shown]
	v_cmp_ne_u32_e64 s[4:5], 0, v90
	s_and_saveexec_b64 s[10:11], s[4:5]
; %bb.11:                               ;   in Loop: Header=BB53_1 Depth=1
	v_add_f64 v[0:1], v[0:1], v[84:85]
	v_add_f64 v[80:81], v[80:81], v[82:83]
; %bb.12:                               ;   in Loop: Header=BB53_1 Depth=1
	s_or_b64 exec, exec, s[10:11]
	s_nop 0
	v_mov_b32_dpp v82, v80 row_bcast:31 row_mask:0xf bank_mask:0xf
	v_mov_b32_dpp v83, v81 row_bcast:31 row_mask:0xf bank_mask:0xf
	;; [unrolled: 1-line block ×4, first 2 shown]
	v_cmp_lt_u32_e64 s[4:5], 31, v89
	s_and_saveexec_b64 s[10:11], s[4:5]
; %bb.13:                               ;   in Loop: Header=BB53_1 Depth=1
	v_add_f64 v[0:1], v[0:1], v[84:85]
	v_add_f64 v[80:81], v[80:81], v[82:83]
; %bb.14:                               ;   in Loop: Header=BB53_1 Depth=1
	s_or_b64 exec, exec, s[10:11]
	v_add_u32_e32 v82, -1, v89
	v_and_b32_e32 v83, 64, v89
	v_cmp_lt_i32_e64 s[4:5], v82, v83
	s_nop 1
	v_cndmask_b32_e64 v82, v82, v89, s[4:5]
	v_lshlrev_b32_e32 v82, 2, v82
	ds_bpermute_b32 v80, v82, v80
	ds_bpermute_b32 v81, v82, v81
	;; [unrolled: 1-line block ×4, first 2 shown]
	s_waitcnt lgkmcnt(2)
	v_add_f64 v[74:75], v[74:75], v[80:81]
	v_cndmask_b32_e64 v75, v75, v31, s[0:1]
	s_waitcnt lgkmcnt(0)
	v_add_f64 v[0:1], v[76:77], v[0:1]
	v_cndmask_b32_e64 v1, v1, v33, s[0:1]
	v_cndmask_b32_e64 v0, v0, v32, s[0:1]
	;; [unrolled: 1-line block ×3, first 2 shown]
	ds_write2_b64 v87, v[74:75], v[0:1] offset1:1
	v_add_f64 v[66:67], v[66:67], v[74:75]
	v_add_f64 v[0:1], v[68:69], v[0:1]
	ds_write2_b64 v87, v[66:67], v[0:1] offset0:2 offset1:3
	v_add_f64 v[66:67], v[70:71], v[66:67]
	v_add_f64 v[0:1], v[72:73], v[0:1]
	ds_write2_b64 v87, v[66:67], v[0:1] offset0:4 offset1:5
	;; [unrolled: 3-line block ×3, first 2 shown]
.LBB53_15:                              ;   in Loop: Header=BB53_1 Depth=1
	s_or_b64 exec, exec, s[8:9]
	v_mov_b64_e32 v[62:63], v[30:31]
	v_mov_b64_e32 v[64:65], v[32:33]
	s_waitcnt lgkmcnt(0)
	s_barrier
	s_and_saveexec_b64 s[4:5], s[2:3]
	s_cbranch_execnz .LBB53_18
; %bb.16:                               ;   in Loop: Header=BB53_1 Depth=1
	s_or_b64 exec, exec, s[4:5]
	s_and_saveexec_b64 s[4:5], s[2:3]
	s_cbranch_execnz .LBB53_19
.LBB53_17:                              ;   in Loop: Header=BB53_1 Depth=1
	s_or_b64 exec, exec, s[4:5]
	s_add_i32 s12, s12, -1
	s_cmp_lg_u32 s12, 0
	s_cbranch_scc1 .LBB53_20
	s_branch .LBB53_21
.LBB53_18:                              ;   in Loop: Header=BB53_1 Depth=1
	ds_read2_b64 v[62:65], v88 offset1:1
	s_or_b64 exec, exec, s[4:5]
	s_and_saveexec_b64 s[4:5], s[2:3]
	s_cbranch_execz .LBB53_17
.LBB53_19:                              ;   in Loop: Header=BB53_1 Depth=1
	s_waitcnt lgkmcnt(0)
	v_add_f64 v[4:5], v[4:5], v[64:65]
	v_add_f64 v[2:3], v[2:3], v[62:63]
	;; [unrolled: 1-line block ×16, first 2 shown]
	s_or_b64 exec, exec, s[4:5]
	s_add_i32 s12, s12, -1
	s_cmp_lg_u32 s12, 0
	s_cbranch_scc0 .LBB53_21
.LBB53_20:                              ;   in Loop: Header=BB53_1 Depth=1
	v_mov_b64_e32 v[20:21], v[32:33]
	v_mov_b64_e32 v[18:19], v[30:31]
	;; [unrolled: 1-line block ×14, first 2 shown]
	s_branch .LBB53_1
.LBB53_21:
	v_mov_b32_e32 v0, s6
	v_mov_b32_e32 v1, s7
	v_lshl_add_u64 v[0:1], v[78:79], 4, v[0:1]
	global_store_dwordx4 v[0:1], v[2:5], off
	global_store_dwordx4 v[0:1], v[58:61], off offset:16
	global_store_dwordx4 v[0:1], v[54:57], off offset:32
	global_store_dwordx4 v[0:1], v[50:53], off offset:48
	global_store_dwordx4 v[0:1], v[46:49], off offset:64
	global_store_dwordx4 v[0:1], v[38:41], off offset:80
	global_store_dwordx4 v[0:1], v[34:37], off offset:96
	global_store_dwordx4 v[0:1], v[30:33], off offset:112
	s_endpgm
	.section	.rodata,"a",@progbits
	.p2align	6, 0x0
	.amdhsa_kernel _Z6kernelI14inclusive_scanILN6hipcub18BlockScanAlgorithmE1EEN15benchmark_utils11custom_typeIddEELj256ELj8ELj100EEvPKT0_PS7_S7_
		.amdhsa_group_segment_fixed_size 4224
		.amdhsa_private_segment_fixed_size 0
		.amdhsa_kernarg_size 288
		.amdhsa_user_sgpr_count 2
		.amdhsa_user_sgpr_dispatch_ptr 0
		.amdhsa_user_sgpr_queue_ptr 0
		.amdhsa_user_sgpr_kernarg_segment_ptr 1
		.amdhsa_user_sgpr_dispatch_id 0
		.amdhsa_user_sgpr_kernarg_preload_length 0
		.amdhsa_user_sgpr_kernarg_preload_offset 0
		.amdhsa_user_sgpr_private_segment_size 0
		.amdhsa_uses_dynamic_stack 0
		.amdhsa_enable_private_segment 0
		.amdhsa_system_sgpr_workgroup_id_x 1
		.amdhsa_system_sgpr_workgroup_id_y 0
		.amdhsa_system_sgpr_workgroup_id_z 0
		.amdhsa_system_sgpr_workgroup_info 0
		.amdhsa_system_vgpr_workitem_id 0
		.amdhsa_next_free_vgpr 91
		.amdhsa_next_free_sgpr 13
		.amdhsa_accum_offset 92
		.amdhsa_reserve_vcc 1
		.amdhsa_float_round_mode_32 0
		.amdhsa_float_round_mode_16_64 0
		.amdhsa_float_denorm_mode_32 3
		.amdhsa_float_denorm_mode_16_64 3
		.amdhsa_dx10_clamp 1
		.amdhsa_ieee_mode 1
		.amdhsa_fp16_overflow 0
		.amdhsa_tg_split 0
		.amdhsa_exception_fp_ieee_invalid_op 0
		.amdhsa_exception_fp_denorm_src 0
		.amdhsa_exception_fp_ieee_div_zero 0
		.amdhsa_exception_fp_ieee_overflow 0
		.amdhsa_exception_fp_ieee_underflow 0
		.amdhsa_exception_fp_ieee_inexact 0
		.amdhsa_exception_int_div_zero 0
	.end_amdhsa_kernel
	.section	.text._Z6kernelI14inclusive_scanILN6hipcub18BlockScanAlgorithmE1EEN15benchmark_utils11custom_typeIddEELj256ELj8ELj100EEvPKT0_PS7_S7_,"axG",@progbits,_Z6kernelI14inclusive_scanILN6hipcub18BlockScanAlgorithmE1EEN15benchmark_utils11custom_typeIddEELj256ELj8ELj100EEvPKT0_PS7_S7_,comdat
.Lfunc_end53:
	.size	_Z6kernelI14inclusive_scanILN6hipcub18BlockScanAlgorithmE1EEN15benchmark_utils11custom_typeIddEELj256ELj8ELj100EEvPKT0_PS7_S7_, .Lfunc_end53-_Z6kernelI14inclusive_scanILN6hipcub18BlockScanAlgorithmE1EEN15benchmark_utils11custom_typeIddEELj256ELj8ELj100EEvPKT0_PS7_S7_
                                        ; -- End function
	.section	.AMDGPU.csdata,"",@progbits
; Kernel info:
; codeLenInByte = 1428
; NumSgprs: 19
; NumVgprs: 91
; NumAgprs: 0
; TotalNumVgprs: 91
; ScratchSize: 0
; MemoryBound: 1
; FloatMode: 240
; IeeeMode: 1
; LDSByteSize: 4224 bytes/workgroup (compile time only)
; SGPRBlocks: 2
; VGPRBlocks: 11
; NumSGPRsForWavesPerEU: 19
; NumVGPRsForWavesPerEU: 91
; AccumOffset: 92
; Occupancy: 5
; WaveLimiterHint : 0
; COMPUTE_PGM_RSRC2:SCRATCH_EN: 0
; COMPUTE_PGM_RSRC2:USER_SGPR: 2
; COMPUTE_PGM_RSRC2:TRAP_HANDLER: 0
; COMPUTE_PGM_RSRC2:TGID_X_EN: 1
; COMPUTE_PGM_RSRC2:TGID_Y_EN: 0
; COMPUTE_PGM_RSRC2:TGID_Z_EN: 0
; COMPUTE_PGM_RSRC2:TIDIG_COMP_CNT: 0
; COMPUTE_PGM_RSRC3_GFX90A:ACCUM_OFFSET: 22
; COMPUTE_PGM_RSRC3_GFX90A:TG_SPLIT: 0
	.section	.text._Z6kernelI14inclusive_scanILN6hipcub18BlockScanAlgorithmE0EEiLj64ELj1ELj100EEvPKT0_PS4_S4_,"axG",@progbits,_Z6kernelI14inclusive_scanILN6hipcub18BlockScanAlgorithmE0EEiLj64ELj1ELj100EEvPKT0_PS4_S4_,comdat
	.protected	_Z6kernelI14inclusive_scanILN6hipcub18BlockScanAlgorithmE0EEiLj64ELj1ELj100EEvPKT0_PS4_S4_ ; -- Begin function _Z6kernelI14inclusive_scanILN6hipcub18BlockScanAlgorithmE0EEiLj64ELj1ELj100EEvPKT0_PS4_S4_
	.globl	_Z6kernelI14inclusive_scanILN6hipcub18BlockScanAlgorithmE0EEiLj64ELj1ELj100EEvPKT0_PS4_S4_
	.p2align	8
	.type	_Z6kernelI14inclusive_scanILN6hipcub18BlockScanAlgorithmE0EEiLj64ELj1ELj100EEvPKT0_PS4_S4_,@function
_Z6kernelI14inclusive_scanILN6hipcub18BlockScanAlgorithmE0EEiLj64ELj1ELj100EEvPKT0_PS4_S4_: ; @_Z6kernelI14inclusive_scanILN6hipcub18BlockScanAlgorithmE0EEiLj64ELj1ELj100EEvPKT0_PS4_S4_
; %bb.0:
	s_load_dwordx4 s[12:15], s[0:1], 0x0
	s_load_dword s3, s[0:1], 0x24
	v_mov_b32_e32 v3, 0
	v_cmp_eq_u32_e64 s[10:11], 63, v0
	s_movk_i32 s16, 0x64
	s_waitcnt lgkmcnt(0)
	v_mov_b32_e32 v4, s12
	s_and_b32 s0, s3, 0xffff
	s_mul_i32 s2, s2, s0
	v_mov_b32_e32 v5, s13
	v_add_u32_e32 v2, s2, v0
	v_lshl_add_u64 v[4:5], v[2:3], 2, v[4:5]
	global_load_dword v1, v[4:5], off
	v_mbcnt_lo_u32_b32 v4, -1, 0
	v_mbcnt_hi_u32_b32 v4, -1, v4
	v_and_b32_e32 v5, 15, v4
	v_cmp_eq_u32_e32 vcc, 0, v5
	v_cmp_lt_u32_e64 s[0:1], 1, v5
	v_cmp_lt_u32_e64 s[2:3], 3, v5
	;; [unrolled: 1-line block ×3, first 2 shown]
	v_and_b32_e32 v5, 16, v4
	v_cmp_eq_u32_e64 s[6:7], 0, v5
	v_cmp_lt_u32_e64 s[8:9], 31, v4
	s_branch .LBB54_2
.LBB54_1:                               ;   in Loop: Header=BB54_2 Depth=1
	s_or_b64 exec, exec, s[12:13]
	s_add_i32 s16, s16, -1
	s_cmp_lg_u32 s16, 0
	s_waitcnt lgkmcnt(0)
	; wave barrier
	s_waitcnt lgkmcnt(0)
	s_cbranch_scc0 .LBB54_4
.LBB54_2:                               ; =>This Inner Loop Header: Depth=1
	s_waitcnt vmcnt(0)
	v_mov_b32_dpp v0, v1 row_shr:1 row_mask:0xf bank_mask:0xf
	v_cndmask_b32_e64 v0, v0, 0, vcc
	v_add_u32_e32 v0, v0, v1
	s_nop 1
	v_mov_b32_dpp v1, v0 row_shr:2 row_mask:0xf bank_mask:0xf
	v_cndmask_b32_e64 v1, 0, v1, s[0:1]
	v_add_u32_e32 v0, v0, v1
	s_nop 1
	v_mov_b32_dpp v1, v0 row_shr:4 row_mask:0xf bank_mask:0xf
	v_cndmask_b32_e64 v1, 0, v1, s[2:3]
	;; [unrolled: 4-line block ×3, first 2 shown]
	v_add_u32_e32 v0, v0, v1
	s_nop 1
	v_mov_b32_dpp v1, v0 row_bcast:15 row_mask:0xf bank_mask:0xf
	v_cndmask_b32_e64 v1, v1, 0, s[6:7]
	v_add_u32_e32 v0, v0, v1
	s_nop 1
	v_mov_b32_dpp v1, v0 row_bcast:31 row_mask:0xf bank_mask:0xf
	v_cndmask_b32_e64 v1, 0, v1, s[8:9]
	v_add_u32_e32 v1, v0, v1
	s_and_saveexec_b64 s[12:13], s[10:11]
	s_cbranch_execz .LBB54_1
; %bb.3:                                ;   in Loop: Header=BB54_2 Depth=1
	ds_write_b32 v3, v1
	s_branch .LBB54_1
.LBB54_4:
	v_mov_b32_e32 v4, s14
	v_mov_b32_e32 v5, s15
	v_lshl_add_u64 v[2:3], v[2:3], 2, v[4:5]
	global_store_dword v[2:3], v1, off
	s_endpgm
	.section	.rodata,"a",@progbits
	.p2align	6, 0x0
	.amdhsa_kernel _Z6kernelI14inclusive_scanILN6hipcub18BlockScanAlgorithmE0EEiLj64ELj1ELj100EEvPKT0_PS4_S4_
		.amdhsa_group_segment_fixed_size 4
		.amdhsa_private_segment_fixed_size 0
		.amdhsa_kernarg_size 280
		.amdhsa_user_sgpr_count 2
		.amdhsa_user_sgpr_dispatch_ptr 0
		.amdhsa_user_sgpr_queue_ptr 0
		.amdhsa_user_sgpr_kernarg_segment_ptr 1
		.amdhsa_user_sgpr_dispatch_id 0
		.amdhsa_user_sgpr_kernarg_preload_length 0
		.amdhsa_user_sgpr_kernarg_preload_offset 0
		.amdhsa_user_sgpr_private_segment_size 0
		.amdhsa_uses_dynamic_stack 0
		.amdhsa_enable_private_segment 0
		.amdhsa_system_sgpr_workgroup_id_x 1
		.amdhsa_system_sgpr_workgroup_id_y 0
		.amdhsa_system_sgpr_workgroup_id_z 0
		.amdhsa_system_sgpr_workgroup_info 0
		.amdhsa_system_vgpr_workitem_id 0
		.amdhsa_next_free_vgpr 6
		.amdhsa_next_free_sgpr 17
		.amdhsa_accum_offset 8
		.amdhsa_reserve_vcc 1
		.amdhsa_float_round_mode_32 0
		.amdhsa_float_round_mode_16_64 0
		.amdhsa_float_denorm_mode_32 3
		.amdhsa_float_denorm_mode_16_64 3
		.amdhsa_dx10_clamp 1
		.amdhsa_ieee_mode 1
		.amdhsa_fp16_overflow 0
		.amdhsa_tg_split 0
		.amdhsa_exception_fp_ieee_invalid_op 0
		.amdhsa_exception_fp_denorm_src 0
		.amdhsa_exception_fp_ieee_div_zero 0
		.amdhsa_exception_fp_ieee_overflow 0
		.amdhsa_exception_fp_ieee_underflow 0
		.amdhsa_exception_fp_ieee_inexact 0
		.amdhsa_exception_int_div_zero 0
	.end_amdhsa_kernel
	.section	.text._Z6kernelI14inclusive_scanILN6hipcub18BlockScanAlgorithmE0EEiLj64ELj1ELj100EEvPKT0_PS4_S4_,"axG",@progbits,_Z6kernelI14inclusive_scanILN6hipcub18BlockScanAlgorithmE0EEiLj64ELj1ELj100EEvPKT0_PS4_S4_,comdat
.Lfunc_end54:
	.size	_Z6kernelI14inclusive_scanILN6hipcub18BlockScanAlgorithmE0EEiLj64ELj1ELj100EEvPKT0_PS4_S4_, .Lfunc_end54-_Z6kernelI14inclusive_scanILN6hipcub18BlockScanAlgorithmE0EEiLj64ELj1ELj100EEvPKT0_PS4_S4_
                                        ; -- End function
	.section	.AMDGPU.csdata,"",@progbits
; Kernel info:
; codeLenInByte = 364
; NumSgprs: 23
; NumVgprs: 6
; NumAgprs: 0
; TotalNumVgprs: 6
; ScratchSize: 0
; MemoryBound: 0
; FloatMode: 240
; IeeeMode: 1
; LDSByteSize: 4 bytes/workgroup (compile time only)
; SGPRBlocks: 2
; VGPRBlocks: 0
; NumSGPRsForWavesPerEU: 23
; NumVGPRsForWavesPerEU: 6
; AccumOffset: 8
; Occupancy: 8
; WaveLimiterHint : 0
; COMPUTE_PGM_RSRC2:SCRATCH_EN: 0
; COMPUTE_PGM_RSRC2:USER_SGPR: 2
; COMPUTE_PGM_RSRC2:TRAP_HANDLER: 0
; COMPUTE_PGM_RSRC2:TGID_X_EN: 1
; COMPUTE_PGM_RSRC2:TGID_Y_EN: 0
; COMPUTE_PGM_RSRC2:TGID_Z_EN: 0
; COMPUTE_PGM_RSRC2:TIDIG_COMP_CNT: 0
; COMPUTE_PGM_RSRC3_GFX90A:ACCUM_OFFSET: 1
; COMPUTE_PGM_RSRC3_GFX90A:TG_SPLIT: 0
	.section	.text._Z6kernelI14inclusive_scanILN6hipcub18BlockScanAlgorithmE0EEiLj64ELj3ELj100EEvPKT0_PS4_S4_,"axG",@progbits,_Z6kernelI14inclusive_scanILN6hipcub18BlockScanAlgorithmE0EEiLj64ELj3ELj100EEvPKT0_PS4_S4_,comdat
	.protected	_Z6kernelI14inclusive_scanILN6hipcub18BlockScanAlgorithmE0EEiLj64ELj3ELj100EEvPKT0_PS4_S4_ ; -- Begin function _Z6kernelI14inclusive_scanILN6hipcub18BlockScanAlgorithmE0EEiLj64ELj3ELj100EEvPKT0_PS4_S4_
	.globl	_Z6kernelI14inclusive_scanILN6hipcub18BlockScanAlgorithmE0EEiLj64ELj3ELj100EEvPKT0_PS4_S4_
	.p2align	8
	.type	_Z6kernelI14inclusive_scanILN6hipcub18BlockScanAlgorithmE0EEiLj64ELj3ELj100EEvPKT0_PS4_S4_,@function
_Z6kernelI14inclusive_scanILN6hipcub18BlockScanAlgorithmE0EEiLj64ELj3ELj100EEvPKT0_PS4_S4_: ; @_Z6kernelI14inclusive_scanILN6hipcub18BlockScanAlgorithmE0EEiLj64ELj3ELj100EEvPKT0_PS4_S4_
; %bb.0:
	s_load_dword s3, s[0:1], 0x24
	s_load_dwordx4 s[12:15], s[0:1], 0x0
	v_mov_b32_e32 v3, 0
	v_mov_b32_e32 v5, v3
	;; [unrolled: 1-line block ×3, first 2 shown]
	s_waitcnt lgkmcnt(0)
	s_and_b32 s0, s3, 0xffff
	s_mul_i32 s2, s2, s0
	v_add_u32_e32 v1, s2, v0
	v_lshl_add_u32 v2, v1, 1, v1
	v_lshl_add_u64 v[10:11], v[2:3], 2, s[12:13]
	v_add_u32_e32 v4, 1, v2
	v_add_u32_e32 v6, 2, v2
	v_lshl_add_u64 v[12:13], v[4:5], 2, s[12:13]
	v_lshl_add_u64 v[14:15], v[6:7], 2, s[12:13]
	global_load_dword v9, v[10:11], off
	global_load_dword v8, v[12:13], off
	;; [unrolled: 1-line block ×3, first 2 shown]
	v_mbcnt_lo_u32_b32 v10, -1, 0
	v_mbcnt_hi_u32_b32 v10, -1, v10
	v_and_b32_e32 v11, 15, v10
	v_cmp_eq_u32_e32 vcc, 0, v11
	v_cmp_lt_u32_e64 s[0:1], 1, v11
	v_cmp_lt_u32_e64 s[2:3], 3, v11
	;; [unrolled: 1-line block ×3, first 2 shown]
	v_and_b32_e32 v11, 16, v10
	v_cmp_eq_u32_e64 s[6:7], 0, v11
	v_add_u32_e32 v11, -1, v10
	v_and_b32_e32 v12, 64, v10
	v_cmp_lt_i32_e64 s[12:13], v11, v12
	v_cmp_lt_u32_e64 s[8:9], 31, v10
	v_cmp_eq_u32_e64 s[10:11], 63, v0
	v_cndmask_b32_e64 v10, v11, v10, s[12:13]
	v_lshlrev_b32_e32 v10, 2, v10
	v_cmp_eq_u32_e64 s[12:13], 0, v0
	s_movk_i32 s18, 0x64
	s_branch .LBB55_2
.LBB55_1:                               ;   in Loop: Header=BB55_2 Depth=1
	s_or_b64 exec, exec, s[16:17]
	ds_bpermute_b32 v0, v10, v0
	s_add_i32 s18, s18, -1
	s_cmp_lg_u32 s18, 0
	s_waitcnt lgkmcnt(0)
	; wave barrier
	s_waitcnt lgkmcnt(0)
	v_cndmask_b32_e64 v0, v0, 0, s[12:13]
	v_add_u32_e32 v9, v0, v9
	v_add_u32_e32 v8, v9, v8
	;; [unrolled: 1-line block ×3, first 2 shown]
	s_cbranch_scc0 .LBB55_4
.LBB55_2:                               ; =>This Inner Loop Header: Depth=1
	s_waitcnt vmcnt(0)
	v_add3_u32 v0, v8, v9, v1
	s_nop 1
	v_mov_b32_dpp v11, v0 row_shr:1 row_mask:0xf bank_mask:0xf
	v_cndmask_b32_e64 v11, v11, 0, vcc
	v_add_u32_e32 v0, v0, v11
	s_nop 1
	v_mov_b32_dpp v11, v0 row_shr:2 row_mask:0xf bank_mask:0xf
	v_cndmask_b32_e64 v11, 0, v11, s[0:1]
	v_add_u32_e32 v0, v0, v11
	s_nop 1
	v_mov_b32_dpp v11, v0 row_shr:4 row_mask:0xf bank_mask:0xf
	v_cndmask_b32_e64 v11, 0, v11, s[2:3]
	;; [unrolled: 4-line block ×3, first 2 shown]
	v_add_u32_e32 v0, v0, v11
	s_nop 1
	v_mov_b32_dpp v11, v0 row_bcast:15 row_mask:0xf bank_mask:0xf
	v_cndmask_b32_e64 v11, v11, 0, s[6:7]
	v_add_u32_e32 v0, v0, v11
	s_nop 1
	v_mov_b32_dpp v11, v0 row_bcast:31 row_mask:0xf bank_mask:0xf
	v_cndmask_b32_e64 v11, 0, v11, s[8:9]
	v_add_u32_e32 v0, v0, v11
	s_and_saveexec_b64 s[16:17], s[10:11]
	s_cbranch_execz .LBB55_1
; %bb.3:                                ;   in Loop: Header=BB55_2 Depth=1
	ds_write_b32 v3, v0
	s_branch .LBB55_1
.LBB55_4:
	v_lshl_add_u64 v[2:3], v[2:3], 2, s[14:15]
	global_store_dword v[2:3], v9, off
	v_lshl_add_u64 v[2:3], v[4:5], 2, s[14:15]
	global_store_dword v[2:3], v8, off
	;; [unrolled: 2-line block ×3, first 2 shown]
	s_endpgm
	.section	.rodata,"a",@progbits
	.p2align	6, 0x0
	.amdhsa_kernel _Z6kernelI14inclusive_scanILN6hipcub18BlockScanAlgorithmE0EEiLj64ELj3ELj100EEvPKT0_PS4_S4_
		.amdhsa_group_segment_fixed_size 4
		.amdhsa_private_segment_fixed_size 0
		.amdhsa_kernarg_size 280
		.amdhsa_user_sgpr_count 2
		.amdhsa_user_sgpr_dispatch_ptr 0
		.amdhsa_user_sgpr_queue_ptr 0
		.amdhsa_user_sgpr_kernarg_segment_ptr 1
		.amdhsa_user_sgpr_dispatch_id 0
		.amdhsa_user_sgpr_kernarg_preload_length 0
		.amdhsa_user_sgpr_kernarg_preload_offset 0
		.amdhsa_user_sgpr_private_segment_size 0
		.amdhsa_uses_dynamic_stack 0
		.amdhsa_enable_private_segment 0
		.amdhsa_system_sgpr_workgroup_id_x 1
		.amdhsa_system_sgpr_workgroup_id_y 0
		.amdhsa_system_sgpr_workgroup_id_z 0
		.amdhsa_system_sgpr_workgroup_info 0
		.amdhsa_system_vgpr_workitem_id 0
		.amdhsa_next_free_vgpr 16
		.amdhsa_next_free_sgpr 19
		.amdhsa_accum_offset 16
		.amdhsa_reserve_vcc 1
		.amdhsa_float_round_mode_32 0
		.amdhsa_float_round_mode_16_64 0
		.amdhsa_float_denorm_mode_32 3
		.amdhsa_float_denorm_mode_16_64 3
		.amdhsa_dx10_clamp 1
		.amdhsa_ieee_mode 1
		.amdhsa_fp16_overflow 0
		.amdhsa_tg_split 0
		.amdhsa_exception_fp_ieee_invalid_op 0
		.amdhsa_exception_fp_denorm_src 0
		.amdhsa_exception_fp_ieee_div_zero 0
		.amdhsa_exception_fp_ieee_overflow 0
		.amdhsa_exception_fp_ieee_underflow 0
		.amdhsa_exception_fp_ieee_inexact 0
		.amdhsa_exception_int_div_zero 0
	.end_amdhsa_kernel
	.section	.text._Z6kernelI14inclusive_scanILN6hipcub18BlockScanAlgorithmE0EEiLj64ELj3ELj100EEvPKT0_PS4_S4_,"axG",@progbits,_Z6kernelI14inclusive_scanILN6hipcub18BlockScanAlgorithmE0EEiLj64ELj3ELj100EEvPKT0_PS4_S4_,comdat
.Lfunc_end55:
	.size	_Z6kernelI14inclusive_scanILN6hipcub18BlockScanAlgorithmE0EEiLj64ELj3ELj100EEvPKT0_PS4_S4_, .Lfunc_end55-_Z6kernelI14inclusive_scanILN6hipcub18BlockScanAlgorithmE0EEiLj64ELj3ELj100EEvPKT0_PS4_S4_
                                        ; -- End function
	.section	.AMDGPU.csdata,"",@progbits
; Kernel info:
; codeLenInByte = 512
; NumSgprs: 25
; NumVgprs: 16
; NumAgprs: 0
; TotalNumVgprs: 16
; ScratchSize: 0
; MemoryBound: 0
; FloatMode: 240
; IeeeMode: 1
; LDSByteSize: 4 bytes/workgroup (compile time only)
; SGPRBlocks: 3
; VGPRBlocks: 1
; NumSGPRsForWavesPerEU: 25
; NumVGPRsForWavesPerEU: 16
; AccumOffset: 16
; Occupancy: 8
; WaveLimiterHint : 0
; COMPUTE_PGM_RSRC2:SCRATCH_EN: 0
; COMPUTE_PGM_RSRC2:USER_SGPR: 2
; COMPUTE_PGM_RSRC2:TRAP_HANDLER: 0
; COMPUTE_PGM_RSRC2:TGID_X_EN: 1
; COMPUTE_PGM_RSRC2:TGID_Y_EN: 0
; COMPUTE_PGM_RSRC2:TGID_Z_EN: 0
; COMPUTE_PGM_RSRC2:TIDIG_COMP_CNT: 0
; COMPUTE_PGM_RSRC3_GFX90A:ACCUM_OFFSET: 3
; COMPUTE_PGM_RSRC3_GFX90A:TG_SPLIT: 0
	.section	.text._Z6kernelI14inclusive_scanILN6hipcub18BlockScanAlgorithmE0EEiLj64ELj4ELj100EEvPKT0_PS4_S4_,"axG",@progbits,_Z6kernelI14inclusive_scanILN6hipcub18BlockScanAlgorithmE0EEiLj64ELj4ELj100EEvPKT0_PS4_S4_,comdat
	.protected	_Z6kernelI14inclusive_scanILN6hipcub18BlockScanAlgorithmE0EEiLj64ELj4ELj100EEvPKT0_PS4_S4_ ; -- Begin function _Z6kernelI14inclusive_scanILN6hipcub18BlockScanAlgorithmE0EEiLj64ELj4ELj100EEvPKT0_PS4_S4_
	.globl	_Z6kernelI14inclusive_scanILN6hipcub18BlockScanAlgorithmE0EEiLj64ELj4ELj100EEvPKT0_PS4_S4_
	.p2align	8
	.type	_Z6kernelI14inclusive_scanILN6hipcub18BlockScanAlgorithmE0EEiLj64ELj4ELj100EEvPKT0_PS4_S4_,@function
_Z6kernelI14inclusive_scanILN6hipcub18BlockScanAlgorithmE0EEiLj64ELj4ELj100EEvPKT0_PS4_S4_: ; @_Z6kernelI14inclusive_scanILN6hipcub18BlockScanAlgorithmE0EEiLj64ELj4ELj100EEvPKT0_PS4_S4_
; %bb.0:
	s_load_dwordx4 s[12:15], s[0:1], 0x0
	s_load_dword s3, s[0:1], 0x24
	v_mov_b32_e32 v7, 0
	v_mbcnt_lo_u32_b32 v1, -1, 0
	v_mbcnt_hi_u32_b32 v1, -1, v1
	s_waitcnt lgkmcnt(0)
	v_mov_b32_e32 v2, s12
	s_and_b32 s0, s3, 0xffff
	s_mul_i32 s2, s2, s0
	v_mov_b32_e32 v3, s13
	v_add_lshl_u32 v6, s2, v0, 2
	v_lshl_add_u64 v[2:3], v[6:7], 2, v[2:3]
	global_load_dwordx4 v[2:5], v[2:3], off
	v_and_b32_e32 v8, 15, v1
	v_cmp_eq_u32_e32 vcc, 0, v8
	v_cmp_lt_u32_e64 s[0:1], 1, v8
	v_cmp_lt_u32_e64 s[2:3], 3, v8
	;; [unrolled: 1-line block ×3, first 2 shown]
	v_and_b32_e32 v8, 16, v1
	v_cmp_eq_u32_e64 s[6:7], 0, v8
	v_add_u32_e32 v8, -1, v1
	v_and_b32_e32 v9, 64, v1
	v_cmp_lt_i32_e64 s[12:13], v8, v9
	v_cmp_lt_u32_e64 s[8:9], 31, v1
	v_cmp_eq_u32_e64 s[10:11], 63, v0
	v_cndmask_b32_e64 v1, v8, v1, s[12:13]
	v_lshlrev_b32_e32 v1, 2, v1
	v_cmp_eq_u32_e64 s[12:13], 0, v0
	s_movk_i32 s18, 0x64
	s_branch .LBB56_2
.LBB56_1:                               ;   in Loop: Header=BB56_2 Depth=1
	s_or_b64 exec, exec, s[16:17]
	ds_bpermute_b32 v0, v1, v0
	s_add_i32 s18, s18, -1
	s_cmp_lg_u32 s18, 0
	s_waitcnt lgkmcnt(0)
	; wave barrier
	s_waitcnt lgkmcnt(0)
	v_cndmask_b32_e64 v0, v0, 0, s[12:13]
	v_add_u32_e32 v2, v0, v2
	v_add_u32_e32 v3, v2, v3
	;; [unrolled: 1-line block ×4, first 2 shown]
	s_cbranch_scc0 .LBB56_4
.LBB56_2:                               ; =>This Inner Loop Header: Depth=1
	s_waitcnt vmcnt(0)
	v_add_u32_e32 v0, v3, v2
	v_add3_u32 v0, v0, v4, v5
	s_nop 1
	v_mov_b32_dpp v8, v0 row_shr:1 row_mask:0xf bank_mask:0xf
	v_cndmask_b32_e64 v8, v8, 0, vcc
	v_add_u32_e32 v0, v0, v8
	s_nop 1
	v_mov_b32_dpp v8, v0 row_shr:2 row_mask:0xf bank_mask:0xf
	v_cndmask_b32_e64 v8, 0, v8, s[0:1]
	v_add_u32_e32 v0, v0, v8
	s_nop 1
	v_mov_b32_dpp v8, v0 row_shr:4 row_mask:0xf bank_mask:0xf
	v_cndmask_b32_e64 v8, 0, v8, s[2:3]
	;; [unrolled: 4-line block ×3, first 2 shown]
	v_add_u32_e32 v0, v0, v8
	s_nop 1
	v_mov_b32_dpp v8, v0 row_bcast:15 row_mask:0xf bank_mask:0xf
	v_cndmask_b32_e64 v8, v8, 0, s[6:7]
	v_add_u32_e32 v0, v0, v8
	s_nop 1
	v_mov_b32_dpp v8, v0 row_bcast:31 row_mask:0xf bank_mask:0xf
	v_cndmask_b32_e64 v8, 0, v8, s[8:9]
	v_add_u32_e32 v0, v0, v8
	s_and_saveexec_b64 s[16:17], s[10:11]
	s_cbranch_execz .LBB56_1
; %bb.3:                                ;   in Loop: Header=BB56_2 Depth=1
	ds_write_b32 v7, v0
	s_branch .LBB56_1
.LBB56_4:
	v_mov_b32_e32 v0, s14
	v_mov_b32_e32 v1, s15
	v_lshl_add_u64 v[0:1], v[6:7], 2, v[0:1]
	global_store_dwordx4 v[0:1], v[2:5], off
	s_endpgm
	.section	.rodata,"a",@progbits
	.p2align	6, 0x0
	.amdhsa_kernel _Z6kernelI14inclusive_scanILN6hipcub18BlockScanAlgorithmE0EEiLj64ELj4ELj100EEvPKT0_PS4_S4_
		.amdhsa_group_segment_fixed_size 4
		.amdhsa_private_segment_fixed_size 0
		.amdhsa_kernarg_size 280
		.amdhsa_user_sgpr_count 2
		.amdhsa_user_sgpr_dispatch_ptr 0
		.amdhsa_user_sgpr_queue_ptr 0
		.amdhsa_user_sgpr_kernarg_segment_ptr 1
		.amdhsa_user_sgpr_dispatch_id 0
		.amdhsa_user_sgpr_kernarg_preload_length 0
		.amdhsa_user_sgpr_kernarg_preload_offset 0
		.amdhsa_user_sgpr_private_segment_size 0
		.amdhsa_uses_dynamic_stack 0
		.amdhsa_enable_private_segment 0
		.amdhsa_system_sgpr_workgroup_id_x 1
		.amdhsa_system_sgpr_workgroup_id_y 0
		.amdhsa_system_sgpr_workgroup_id_z 0
		.amdhsa_system_sgpr_workgroup_info 0
		.amdhsa_system_vgpr_workitem_id 0
		.amdhsa_next_free_vgpr 10
		.amdhsa_next_free_sgpr 19
		.amdhsa_accum_offset 12
		.amdhsa_reserve_vcc 1
		.amdhsa_float_round_mode_32 0
		.amdhsa_float_round_mode_16_64 0
		.amdhsa_float_denorm_mode_32 3
		.amdhsa_float_denorm_mode_16_64 3
		.amdhsa_dx10_clamp 1
		.amdhsa_ieee_mode 1
		.amdhsa_fp16_overflow 0
		.amdhsa_tg_split 0
		.amdhsa_exception_fp_ieee_invalid_op 0
		.amdhsa_exception_fp_denorm_src 0
		.amdhsa_exception_fp_ieee_div_zero 0
		.amdhsa_exception_fp_ieee_overflow 0
		.amdhsa_exception_fp_ieee_underflow 0
		.amdhsa_exception_fp_ieee_inexact 0
		.amdhsa_exception_int_div_zero 0
	.end_amdhsa_kernel
	.section	.text._Z6kernelI14inclusive_scanILN6hipcub18BlockScanAlgorithmE0EEiLj64ELj4ELj100EEvPKT0_PS4_S4_,"axG",@progbits,_Z6kernelI14inclusive_scanILN6hipcub18BlockScanAlgorithmE0EEiLj64ELj4ELj100EEvPKT0_PS4_S4_,comdat
.Lfunc_end56:
	.size	_Z6kernelI14inclusive_scanILN6hipcub18BlockScanAlgorithmE0EEiLj64ELj4ELj100EEvPKT0_PS4_S4_, .Lfunc_end56-_Z6kernelI14inclusive_scanILN6hipcub18BlockScanAlgorithmE0EEiLj64ELj4ELj100EEvPKT0_PS4_S4_
                                        ; -- End function
	.section	.AMDGPU.csdata,"",@progbits
; Kernel info:
; codeLenInByte = 452
; NumSgprs: 25
; NumVgprs: 10
; NumAgprs: 0
; TotalNumVgprs: 10
; ScratchSize: 0
; MemoryBound: 0
; FloatMode: 240
; IeeeMode: 1
; LDSByteSize: 4 bytes/workgroup (compile time only)
; SGPRBlocks: 3
; VGPRBlocks: 1
; NumSGPRsForWavesPerEU: 25
; NumVGPRsForWavesPerEU: 10
; AccumOffset: 12
; Occupancy: 8
; WaveLimiterHint : 0
; COMPUTE_PGM_RSRC2:SCRATCH_EN: 0
; COMPUTE_PGM_RSRC2:USER_SGPR: 2
; COMPUTE_PGM_RSRC2:TRAP_HANDLER: 0
; COMPUTE_PGM_RSRC2:TGID_X_EN: 1
; COMPUTE_PGM_RSRC2:TGID_Y_EN: 0
; COMPUTE_PGM_RSRC2:TGID_Z_EN: 0
; COMPUTE_PGM_RSRC2:TIDIG_COMP_CNT: 0
; COMPUTE_PGM_RSRC3_GFX90A:ACCUM_OFFSET: 2
; COMPUTE_PGM_RSRC3_GFX90A:TG_SPLIT: 0
	.section	.text._Z6kernelI14inclusive_scanILN6hipcub18BlockScanAlgorithmE0EEiLj64ELj8ELj100EEvPKT0_PS4_S4_,"axG",@progbits,_Z6kernelI14inclusive_scanILN6hipcub18BlockScanAlgorithmE0EEiLj64ELj8ELj100EEvPKT0_PS4_S4_,comdat
	.protected	_Z6kernelI14inclusive_scanILN6hipcub18BlockScanAlgorithmE0EEiLj64ELj8ELj100EEvPKT0_PS4_S4_ ; -- Begin function _Z6kernelI14inclusive_scanILN6hipcub18BlockScanAlgorithmE0EEiLj64ELj8ELj100EEvPKT0_PS4_S4_
	.globl	_Z6kernelI14inclusive_scanILN6hipcub18BlockScanAlgorithmE0EEiLj64ELj8ELj100EEvPKT0_PS4_S4_
	.p2align	8
	.type	_Z6kernelI14inclusive_scanILN6hipcub18BlockScanAlgorithmE0EEiLj64ELj8ELj100EEvPKT0_PS4_S4_,@function
_Z6kernelI14inclusive_scanILN6hipcub18BlockScanAlgorithmE0EEiLj64ELj8ELj100EEvPKT0_PS4_S4_: ; @_Z6kernelI14inclusive_scanILN6hipcub18BlockScanAlgorithmE0EEiLj64ELj8ELj100EEvPKT0_PS4_S4_
; %bb.0:
	s_load_dwordx4 s[12:15], s[0:1], 0x0
	s_load_dword s3, s[0:1], 0x24
	v_mov_b32_e32 v11, 0
	v_mbcnt_lo_u32_b32 v1, -1, 0
	v_mbcnt_hi_u32_b32 v1, -1, v1
	s_waitcnt lgkmcnt(0)
	v_mov_b32_e32 v2, s12
	s_and_b32 s0, s3, 0xffff
	s_mul_i32 s2, s2, s0
	v_mov_b32_e32 v3, s13
	v_add_lshl_u32 v10, s2, v0, 3
	v_lshl_add_u64 v[12:13], v[10:11], 2, v[2:3]
	global_load_dwordx4 v[6:9], v[12:13], off
	global_load_dwordx4 v[2:5], v[12:13], off offset:16
	v_and_b32_e32 v12, 15, v1
	v_cmp_eq_u32_e32 vcc, 0, v12
	v_cmp_lt_u32_e64 s[0:1], 1, v12
	v_cmp_lt_u32_e64 s[2:3], 3, v12
	;; [unrolled: 1-line block ×3, first 2 shown]
	v_and_b32_e32 v12, 16, v1
	v_cmp_eq_u32_e64 s[6:7], 0, v12
	v_add_u32_e32 v12, -1, v1
	v_and_b32_e32 v13, 64, v1
	v_cmp_lt_i32_e64 s[12:13], v12, v13
	v_cmp_lt_u32_e64 s[8:9], 31, v1
	v_cmp_eq_u32_e64 s[10:11], 63, v0
	v_cndmask_b32_e64 v1, v12, v1, s[12:13]
	v_lshlrev_b32_e32 v1, 2, v1
	v_cmp_eq_u32_e64 s[12:13], 0, v0
	s_movk_i32 s18, 0x64
	s_branch .LBB57_2
.LBB57_1:                               ;   in Loop: Header=BB57_2 Depth=1
	s_or_b64 exec, exec, s[16:17]
	ds_bpermute_b32 v0, v1, v0
	s_add_i32 s18, s18, -1
	s_cmp_lg_u32 s18, 0
	s_waitcnt lgkmcnt(0)
	; wave barrier
	s_waitcnt lgkmcnt(0)
	v_cndmask_b32_e64 v0, v0, 0, s[12:13]
	v_add_u32_e32 v6, v0, v6
	v_add_u32_e32 v7, v6, v7
	;; [unrolled: 1-line block ×8, first 2 shown]
	s_cbranch_scc0 .LBB57_4
.LBB57_2:                               ; =>This Inner Loop Header: Depth=1
	s_waitcnt vmcnt(1)
	v_add_u32_e32 v0, v7, v6
	v_add3_u32 v0, v0, v8, v9
	s_waitcnt vmcnt(0)
	v_add3_u32 v0, v0, v2, v3
	v_add3_u32 v0, v0, v4, v5
	s_nop 1
	v_mov_b32_dpp v12, v0 row_shr:1 row_mask:0xf bank_mask:0xf
	v_cndmask_b32_e64 v12, v12, 0, vcc
	v_add_u32_e32 v0, v0, v12
	s_nop 1
	v_mov_b32_dpp v12, v0 row_shr:2 row_mask:0xf bank_mask:0xf
	v_cndmask_b32_e64 v12, 0, v12, s[0:1]
	v_add_u32_e32 v0, v0, v12
	s_nop 1
	v_mov_b32_dpp v12, v0 row_shr:4 row_mask:0xf bank_mask:0xf
	v_cndmask_b32_e64 v12, 0, v12, s[2:3]
	;; [unrolled: 4-line block ×3, first 2 shown]
	v_add_u32_e32 v0, v0, v12
	s_nop 1
	v_mov_b32_dpp v12, v0 row_bcast:15 row_mask:0xf bank_mask:0xf
	v_cndmask_b32_e64 v12, v12, 0, s[6:7]
	v_add_u32_e32 v0, v0, v12
	s_nop 1
	v_mov_b32_dpp v12, v0 row_bcast:31 row_mask:0xf bank_mask:0xf
	v_cndmask_b32_e64 v12, 0, v12, s[8:9]
	v_add_u32_e32 v0, v0, v12
	s_and_saveexec_b64 s[16:17], s[10:11]
	s_cbranch_execz .LBB57_1
; %bb.3:                                ;   in Loop: Header=BB57_2 Depth=1
	ds_write_b32 v11, v0
	s_branch .LBB57_1
.LBB57_4:
	v_mov_b32_e32 v0, s14
	v_mov_b32_e32 v1, s15
	v_lshl_add_u64 v[0:1], v[10:11], 2, v[0:1]
	global_store_dwordx4 v[0:1], v[6:9], off
	global_store_dwordx4 v[0:1], v[2:5], off offset:16
	s_endpgm
	.section	.rodata,"a",@progbits
	.p2align	6, 0x0
	.amdhsa_kernel _Z6kernelI14inclusive_scanILN6hipcub18BlockScanAlgorithmE0EEiLj64ELj8ELj100EEvPKT0_PS4_S4_
		.amdhsa_group_segment_fixed_size 4
		.amdhsa_private_segment_fixed_size 0
		.amdhsa_kernarg_size 280
		.amdhsa_user_sgpr_count 2
		.amdhsa_user_sgpr_dispatch_ptr 0
		.amdhsa_user_sgpr_queue_ptr 0
		.amdhsa_user_sgpr_kernarg_segment_ptr 1
		.amdhsa_user_sgpr_dispatch_id 0
		.amdhsa_user_sgpr_kernarg_preload_length 0
		.amdhsa_user_sgpr_kernarg_preload_offset 0
		.amdhsa_user_sgpr_private_segment_size 0
		.amdhsa_uses_dynamic_stack 0
		.amdhsa_enable_private_segment 0
		.amdhsa_system_sgpr_workgroup_id_x 1
		.amdhsa_system_sgpr_workgroup_id_y 0
		.amdhsa_system_sgpr_workgroup_id_z 0
		.amdhsa_system_sgpr_workgroup_info 0
		.amdhsa_system_vgpr_workitem_id 0
		.amdhsa_next_free_vgpr 14
		.amdhsa_next_free_sgpr 19
		.amdhsa_accum_offset 16
		.amdhsa_reserve_vcc 1
		.amdhsa_float_round_mode_32 0
		.amdhsa_float_round_mode_16_64 0
		.amdhsa_float_denorm_mode_32 3
		.amdhsa_float_denorm_mode_16_64 3
		.amdhsa_dx10_clamp 1
		.amdhsa_ieee_mode 1
		.amdhsa_fp16_overflow 0
		.amdhsa_tg_split 0
		.amdhsa_exception_fp_ieee_invalid_op 0
		.amdhsa_exception_fp_denorm_src 0
		.amdhsa_exception_fp_ieee_div_zero 0
		.amdhsa_exception_fp_ieee_overflow 0
		.amdhsa_exception_fp_ieee_underflow 0
		.amdhsa_exception_fp_ieee_inexact 0
		.amdhsa_exception_int_div_zero 0
	.end_amdhsa_kernel
	.section	.text._Z6kernelI14inclusive_scanILN6hipcub18BlockScanAlgorithmE0EEiLj64ELj8ELj100EEvPKT0_PS4_S4_,"axG",@progbits,_Z6kernelI14inclusive_scanILN6hipcub18BlockScanAlgorithmE0EEiLj64ELj8ELj100EEvPKT0_PS4_S4_,comdat
.Lfunc_end57:
	.size	_Z6kernelI14inclusive_scanILN6hipcub18BlockScanAlgorithmE0EEiLj64ELj8ELj100EEvPKT0_PS4_S4_, .Lfunc_end57-_Z6kernelI14inclusive_scanILN6hipcub18BlockScanAlgorithmE0EEiLj64ELj8ELj100EEvPKT0_PS4_S4_
                                        ; -- End function
	.section	.AMDGPU.csdata,"",@progbits
; Kernel info:
; codeLenInByte = 504
; NumSgprs: 25
; NumVgprs: 14
; NumAgprs: 0
; TotalNumVgprs: 14
; ScratchSize: 0
; MemoryBound: 0
; FloatMode: 240
; IeeeMode: 1
; LDSByteSize: 4 bytes/workgroup (compile time only)
; SGPRBlocks: 3
; VGPRBlocks: 1
; NumSGPRsForWavesPerEU: 25
; NumVGPRsForWavesPerEU: 14
; AccumOffset: 16
; Occupancy: 8
; WaveLimiterHint : 0
; COMPUTE_PGM_RSRC2:SCRATCH_EN: 0
; COMPUTE_PGM_RSRC2:USER_SGPR: 2
; COMPUTE_PGM_RSRC2:TRAP_HANDLER: 0
; COMPUTE_PGM_RSRC2:TGID_X_EN: 1
; COMPUTE_PGM_RSRC2:TGID_Y_EN: 0
; COMPUTE_PGM_RSRC2:TGID_Z_EN: 0
; COMPUTE_PGM_RSRC2:TIDIG_COMP_CNT: 0
; COMPUTE_PGM_RSRC3_GFX90A:ACCUM_OFFSET: 3
; COMPUTE_PGM_RSRC3_GFX90A:TG_SPLIT: 0
	.section	.text._Z6kernelI14inclusive_scanILN6hipcub18BlockScanAlgorithmE0EEiLj64ELj11ELj100EEvPKT0_PS4_S4_,"axG",@progbits,_Z6kernelI14inclusive_scanILN6hipcub18BlockScanAlgorithmE0EEiLj64ELj11ELj100EEvPKT0_PS4_S4_,comdat
	.protected	_Z6kernelI14inclusive_scanILN6hipcub18BlockScanAlgorithmE0EEiLj64ELj11ELj100EEvPKT0_PS4_S4_ ; -- Begin function _Z6kernelI14inclusive_scanILN6hipcub18BlockScanAlgorithmE0EEiLj64ELj11ELj100EEvPKT0_PS4_S4_
	.globl	_Z6kernelI14inclusive_scanILN6hipcub18BlockScanAlgorithmE0EEiLj64ELj11ELj100EEvPKT0_PS4_S4_
	.p2align	8
	.type	_Z6kernelI14inclusive_scanILN6hipcub18BlockScanAlgorithmE0EEiLj64ELj11ELj100EEvPKT0_PS4_S4_,@function
_Z6kernelI14inclusive_scanILN6hipcub18BlockScanAlgorithmE0EEiLj64ELj11ELj100EEvPKT0_PS4_S4_: ; @_Z6kernelI14inclusive_scanILN6hipcub18BlockScanAlgorithmE0EEiLj64ELj11ELj100EEvPKT0_PS4_S4_
; %bb.0:
	s_load_dword s3, s[0:1], 0x24
	s_load_dwordx4 s[12:15], s[0:1], 0x0
	v_mov_b32_e32 v3, 0
	v_mov_b32_e32 v5, v3
	;; [unrolled: 1-line block ×3, first 2 shown]
	s_waitcnt lgkmcnt(0)
	s_and_b32 s0, s3, 0xffff
	s_mul_i32 s2, s2, s0
	v_add_u32_e32 v1, s2, v0
	v_mul_lo_u32 v2, v1, 11
	v_lshl_add_u64 v[18:19], v[2:3], 2, s[12:13]
	v_add_u32_e32 v4, 1, v2
	v_add_u32_e32 v6, 2, v2
	;; [unrolled: 1-line block ×3, first 2 shown]
	v_mov_b32_e32 v9, v3
	v_add_u32_e32 v10, 4, v2
	v_mov_b32_e32 v11, v3
	v_add_u32_e32 v12, 5, v2
	v_mov_b32_e32 v13, v3
	v_add_u32_e32 v14, 6, v2
	v_mov_b32_e32 v15, v3
	v_add_u32_e32 v16, 7, v2
	v_mov_b32_e32 v17, v3
	v_lshl_add_u64 v[20:21], v[4:5], 2, s[12:13]
	v_lshl_add_u64 v[22:23], v[6:7], 2, s[12:13]
	;; [unrolled: 1-line block ×7, first 2 shown]
	global_load_dword v30, v[18:19], off
	global_load_dword v29, v[20:21], off
	;; [unrolled: 1-line block ×8, first 2 shown]
	v_add_u32_e32 v18, 8, v2
	v_mov_b32_e32 v19, v3
	v_lshl_add_u64 v[34:35], v[18:19], 2, s[12:13]
	v_add_u32_e32 v20, 9, v2
	v_mov_b32_e32 v21, v3
	v_add_u32_e32 v22, 10, v2
	v_mov_b32_e32 v23, v3
	v_lshl_add_u64 v[36:37], v[20:21], 2, s[12:13]
	v_lshl_add_u64 v[38:39], v[22:23], 2, s[12:13]
	global_load_dword v33, v[34:35], off
	global_load_dword v32, v[36:37], off
	;; [unrolled: 1-line block ×3, first 2 shown]
	v_mbcnt_lo_u32_b32 v34, -1, 0
	v_mbcnt_hi_u32_b32 v34, -1, v34
	v_and_b32_e32 v35, 15, v34
	v_cmp_eq_u32_e32 vcc, 0, v35
	v_cmp_lt_u32_e64 s[0:1], 1, v35
	v_cmp_lt_u32_e64 s[2:3], 3, v35
	v_cmp_lt_u32_e64 s[4:5], 7, v35
	v_and_b32_e32 v35, 16, v34
	v_cmp_eq_u32_e64 s[6:7], 0, v35
	v_add_u32_e32 v35, -1, v34
	v_and_b32_e32 v36, 64, v34
	v_cmp_lt_i32_e64 s[12:13], v35, v36
	v_cmp_lt_u32_e64 s[8:9], 31, v34
	v_cmp_eq_u32_e64 s[10:11], 63, v0
	v_cndmask_b32_e64 v34, v35, v34, s[12:13]
	v_lshlrev_b32_e32 v34, 2, v34
	v_cmp_eq_u32_e64 s[12:13], 0, v0
	s_movk_i32 s18, 0x64
	s_branch .LBB58_2
.LBB58_1:                               ;   in Loop: Header=BB58_2 Depth=1
	s_or_b64 exec, exec, s[16:17]
	ds_bpermute_b32 v0, v34, v0
	s_add_i32 s18, s18, -1
	s_cmp_lg_u32 s18, 0
	s_waitcnt lgkmcnt(0)
	; wave barrier
	s_waitcnt lgkmcnt(0)
	v_cndmask_b32_e64 v0, v0, 0, s[12:13]
	v_add_u32_e32 v30, v0, v30
	v_add_u32_e32 v29, v30, v29
	;; [unrolled: 1-line block ×11, first 2 shown]
	s_cbranch_scc0 .LBB58_4
.LBB58_2:                               ; =>This Inner Loop Header: Depth=1
	s_waitcnt vmcnt(0)
	v_add3_u32 v0, v32, v31, v33
	v_add3_u32 v0, v0, v1, v24
	;; [unrolled: 1-line block ×5, first 2 shown]
	s_nop 1
	v_mov_b32_dpp v35, v0 row_shr:1 row_mask:0xf bank_mask:0xf
	v_cndmask_b32_e64 v35, v35, 0, vcc
	v_add_u32_e32 v0, v0, v35
	s_nop 1
	v_mov_b32_dpp v35, v0 row_shr:2 row_mask:0xf bank_mask:0xf
	v_cndmask_b32_e64 v35, 0, v35, s[0:1]
	v_add_u32_e32 v0, v0, v35
	s_nop 1
	v_mov_b32_dpp v35, v0 row_shr:4 row_mask:0xf bank_mask:0xf
	v_cndmask_b32_e64 v35, 0, v35, s[2:3]
	;; [unrolled: 4-line block ×3, first 2 shown]
	v_add_u32_e32 v0, v0, v35
	s_nop 1
	v_mov_b32_dpp v35, v0 row_bcast:15 row_mask:0xf bank_mask:0xf
	v_cndmask_b32_e64 v35, v35, 0, s[6:7]
	v_add_u32_e32 v0, v0, v35
	s_nop 1
	v_mov_b32_dpp v35, v0 row_bcast:31 row_mask:0xf bank_mask:0xf
	v_cndmask_b32_e64 v35, 0, v35, s[8:9]
	v_add_u32_e32 v0, v0, v35
	s_and_saveexec_b64 s[16:17], s[10:11]
	s_cbranch_execz .LBB58_1
; %bb.3:                                ;   in Loop: Header=BB58_2 Depth=1
	ds_write_b32 v3, v0
	s_branch .LBB58_1
.LBB58_4:
	v_lshl_add_u64 v[2:3], v[2:3], 2, s[14:15]
	global_store_dword v[2:3], v30, off
	v_lshl_add_u64 v[2:3], v[4:5], 2, s[14:15]
	global_store_dword v[2:3], v29, off
	;; [unrolled: 2-line block ×11, first 2 shown]
	s_endpgm
	.section	.rodata,"a",@progbits
	.p2align	6, 0x0
	.amdhsa_kernel _Z6kernelI14inclusive_scanILN6hipcub18BlockScanAlgorithmE0EEiLj64ELj11ELj100EEvPKT0_PS4_S4_
		.amdhsa_group_segment_fixed_size 4
		.amdhsa_private_segment_fixed_size 0
		.amdhsa_kernarg_size 280
		.amdhsa_user_sgpr_count 2
		.amdhsa_user_sgpr_dispatch_ptr 0
		.amdhsa_user_sgpr_queue_ptr 0
		.amdhsa_user_sgpr_kernarg_segment_ptr 1
		.amdhsa_user_sgpr_dispatch_id 0
		.amdhsa_user_sgpr_kernarg_preload_length 0
		.amdhsa_user_sgpr_kernarg_preload_offset 0
		.amdhsa_user_sgpr_private_segment_size 0
		.amdhsa_uses_dynamic_stack 0
		.amdhsa_enable_private_segment 0
		.amdhsa_system_sgpr_workgroup_id_x 1
		.amdhsa_system_sgpr_workgroup_id_y 0
		.amdhsa_system_sgpr_workgroup_id_z 0
		.amdhsa_system_sgpr_workgroup_info 0
		.amdhsa_system_vgpr_workitem_id 0
		.amdhsa_next_free_vgpr 42
		.amdhsa_next_free_sgpr 19
		.amdhsa_accum_offset 44
		.amdhsa_reserve_vcc 1
		.amdhsa_float_round_mode_32 0
		.amdhsa_float_round_mode_16_64 0
		.amdhsa_float_denorm_mode_32 3
		.amdhsa_float_denorm_mode_16_64 3
		.amdhsa_dx10_clamp 1
		.amdhsa_ieee_mode 1
		.amdhsa_fp16_overflow 0
		.amdhsa_tg_split 0
		.amdhsa_exception_fp_ieee_invalid_op 0
		.amdhsa_exception_fp_denorm_src 0
		.amdhsa_exception_fp_ieee_div_zero 0
		.amdhsa_exception_fp_ieee_overflow 0
		.amdhsa_exception_fp_ieee_underflow 0
		.amdhsa_exception_fp_ieee_inexact 0
		.amdhsa_exception_int_div_zero 0
	.end_amdhsa_kernel
	.section	.text._Z6kernelI14inclusive_scanILN6hipcub18BlockScanAlgorithmE0EEiLj64ELj11ELj100EEvPKT0_PS4_S4_,"axG",@progbits,_Z6kernelI14inclusive_scanILN6hipcub18BlockScanAlgorithmE0EEiLj64ELj11ELj100EEvPKT0_PS4_S4_,comdat
.Lfunc_end58:
	.size	_Z6kernelI14inclusive_scanILN6hipcub18BlockScanAlgorithmE0EEiLj64ELj11ELj100EEvPKT0_PS4_S4_, .Lfunc_end58-_Z6kernelI14inclusive_scanILN6hipcub18BlockScanAlgorithmE0EEiLj64ELj11ELj100EEvPKT0_PS4_S4_
                                        ; -- End function
	.section	.AMDGPU.csdata,"",@progbits
; Kernel info:
; codeLenInByte = 896
; NumSgprs: 25
; NumVgprs: 42
; NumAgprs: 0
; TotalNumVgprs: 42
; ScratchSize: 0
; MemoryBound: 0
; FloatMode: 240
; IeeeMode: 1
; LDSByteSize: 4 bytes/workgroup (compile time only)
; SGPRBlocks: 3
; VGPRBlocks: 5
; NumSGPRsForWavesPerEU: 25
; NumVGPRsForWavesPerEU: 42
; AccumOffset: 44
; Occupancy: 8
; WaveLimiterHint : 0
; COMPUTE_PGM_RSRC2:SCRATCH_EN: 0
; COMPUTE_PGM_RSRC2:USER_SGPR: 2
; COMPUTE_PGM_RSRC2:TRAP_HANDLER: 0
; COMPUTE_PGM_RSRC2:TGID_X_EN: 1
; COMPUTE_PGM_RSRC2:TGID_Y_EN: 0
; COMPUTE_PGM_RSRC2:TGID_Z_EN: 0
; COMPUTE_PGM_RSRC2:TIDIG_COMP_CNT: 0
; COMPUTE_PGM_RSRC3_GFX90A:ACCUM_OFFSET: 10
; COMPUTE_PGM_RSRC3_GFX90A:TG_SPLIT: 0
	.section	.text._Z6kernelI14inclusive_scanILN6hipcub18BlockScanAlgorithmE0EEiLj64ELj16ELj100EEvPKT0_PS4_S4_,"axG",@progbits,_Z6kernelI14inclusive_scanILN6hipcub18BlockScanAlgorithmE0EEiLj64ELj16ELj100EEvPKT0_PS4_S4_,comdat
	.protected	_Z6kernelI14inclusive_scanILN6hipcub18BlockScanAlgorithmE0EEiLj64ELj16ELj100EEvPKT0_PS4_S4_ ; -- Begin function _Z6kernelI14inclusive_scanILN6hipcub18BlockScanAlgorithmE0EEiLj64ELj16ELj100EEvPKT0_PS4_S4_
	.globl	_Z6kernelI14inclusive_scanILN6hipcub18BlockScanAlgorithmE0EEiLj64ELj16ELj100EEvPKT0_PS4_S4_
	.p2align	8
	.type	_Z6kernelI14inclusive_scanILN6hipcub18BlockScanAlgorithmE0EEiLj64ELj16ELj100EEvPKT0_PS4_S4_,@function
_Z6kernelI14inclusive_scanILN6hipcub18BlockScanAlgorithmE0EEiLj64ELj16ELj100EEvPKT0_PS4_S4_: ; @_Z6kernelI14inclusive_scanILN6hipcub18BlockScanAlgorithmE0EEiLj64ELj16ELj100EEvPKT0_PS4_S4_
; %bb.0:
	s_load_dwordx4 s[12:15], s[0:1], 0x0
	s_load_dword s3, s[0:1], 0x24
	v_mov_b32_e32 v19, 0
	v_mbcnt_lo_u32_b32 v1, -1, 0
	v_mbcnt_hi_u32_b32 v1, -1, v1
	s_waitcnt lgkmcnt(0)
	v_mov_b32_e32 v2, s12
	s_and_b32 s0, s3, 0xffff
	s_mul_i32 s2, s2, s0
	v_mov_b32_e32 v3, s13
	v_add_lshl_u32 v18, s2, v0, 4
	v_lshl_add_u64 v[20:21], v[18:19], 2, v[2:3]
	global_load_dwordx4 v[2:5], v[20:21], off offset:48
	global_load_dwordx4 v[6:9], v[20:21], off offset:32
	;; [unrolled: 1-line block ×3, first 2 shown]
	global_load_dwordx4 v[14:17], v[20:21], off
	v_and_b32_e32 v20, 15, v1
	v_cmp_eq_u32_e32 vcc, 0, v20
	v_cmp_lt_u32_e64 s[0:1], 1, v20
	v_cmp_lt_u32_e64 s[2:3], 3, v20
	;; [unrolled: 1-line block ×3, first 2 shown]
	v_and_b32_e32 v20, 16, v1
	v_cmp_eq_u32_e64 s[6:7], 0, v20
	v_add_u32_e32 v20, -1, v1
	v_and_b32_e32 v21, 64, v1
	v_cmp_lt_i32_e64 s[12:13], v20, v21
	v_cmp_lt_u32_e64 s[8:9], 31, v1
	v_cmp_eq_u32_e64 s[10:11], 63, v0
	v_cndmask_b32_e64 v1, v20, v1, s[12:13]
	v_lshlrev_b32_e32 v1, 2, v1
	v_cmp_eq_u32_e64 s[12:13], 0, v0
	s_movk_i32 s18, 0x64
	s_branch .LBB59_2
.LBB59_1:                               ;   in Loop: Header=BB59_2 Depth=1
	s_or_b64 exec, exec, s[16:17]
	ds_bpermute_b32 v0, v1, v0
	s_add_i32 s18, s18, -1
	s_cmp_lg_u32 s18, 0
	s_waitcnt lgkmcnt(0)
	; wave barrier
	s_waitcnt lgkmcnt(0)
	v_cndmask_b32_e64 v0, v0, 0, s[12:13]
	v_add_u32_e32 v14, v0, v14
	v_add_u32_e32 v15, v14, v15
	;; [unrolled: 1-line block ×16, first 2 shown]
	s_cbranch_scc0 .LBB59_4
.LBB59_2:                               ; =>This Inner Loop Header: Depth=1
	s_waitcnt vmcnt(3)
	v_add_u32_e32 v0, v4, v5
	v_add3_u32 v0, v0, v3, v2
	s_waitcnt vmcnt(2)
	v_add3_u32 v0, v0, v9, v8
	v_add3_u32 v0, v0, v7, v6
	s_waitcnt vmcnt(1)
	v_add3_u32 v0, v0, v13, v12
	;; [unrolled: 3-line block ×3, first 2 shown]
	v_add3_u32 v0, v0, v15, v14
	s_nop 1
	v_mov_b32_dpp v20, v0 row_shr:1 row_mask:0xf bank_mask:0xf
	v_cndmask_b32_e64 v20, v20, 0, vcc
	v_add_u32_e32 v0, v0, v20
	s_nop 1
	v_mov_b32_dpp v20, v0 row_shr:2 row_mask:0xf bank_mask:0xf
	v_cndmask_b32_e64 v20, 0, v20, s[0:1]
	v_add_u32_e32 v0, v0, v20
	s_nop 1
	v_mov_b32_dpp v20, v0 row_shr:4 row_mask:0xf bank_mask:0xf
	v_cndmask_b32_e64 v20, 0, v20, s[2:3]
	;; [unrolled: 4-line block ×3, first 2 shown]
	v_add_u32_e32 v0, v0, v20
	s_nop 1
	v_mov_b32_dpp v20, v0 row_bcast:15 row_mask:0xf bank_mask:0xf
	v_cndmask_b32_e64 v20, v20, 0, s[6:7]
	v_add_u32_e32 v0, v0, v20
	s_nop 1
	v_mov_b32_dpp v20, v0 row_bcast:31 row_mask:0xf bank_mask:0xf
	v_cndmask_b32_e64 v20, 0, v20, s[8:9]
	v_add_u32_e32 v0, v0, v20
	s_and_saveexec_b64 s[16:17], s[10:11]
	s_cbranch_execz .LBB59_1
; %bb.3:                                ;   in Loop: Header=BB59_2 Depth=1
	ds_write_b32 v19, v0
	s_branch .LBB59_1
.LBB59_4:
	v_mov_b32_e32 v0, s14
	v_mov_b32_e32 v1, s15
	v_lshl_add_u64 v[0:1], v[18:19], 2, v[0:1]
	global_store_dwordx4 v[0:1], v[14:17], off
	global_store_dwordx4 v[0:1], v[10:13], off offset:16
	global_store_dwordx4 v[0:1], v[6:9], off offset:32
	;; [unrolled: 1-line block ×3, first 2 shown]
	s_endpgm
	.section	.rodata,"a",@progbits
	.p2align	6, 0x0
	.amdhsa_kernel _Z6kernelI14inclusive_scanILN6hipcub18BlockScanAlgorithmE0EEiLj64ELj16ELj100EEvPKT0_PS4_S4_
		.amdhsa_group_segment_fixed_size 4
		.amdhsa_private_segment_fixed_size 0
		.amdhsa_kernarg_size 280
		.amdhsa_user_sgpr_count 2
		.amdhsa_user_sgpr_dispatch_ptr 0
		.amdhsa_user_sgpr_queue_ptr 0
		.amdhsa_user_sgpr_kernarg_segment_ptr 1
		.amdhsa_user_sgpr_dispatch_id 0
		.amdhsa_user_sgpr_kernarg_preload_length 0
		.amdhsa_user_sgpr_kernarg_preload_offset 0
		.amdhsa_user_sgpr_private_segment_size 0
		.amdhsa_uses_dynamic_stack 0
		.amdhsa_enable_private_segment 0
		.amdhsa_system_sgpr_workgroup_id_x 1
		.amdhsa_system_sgpr_workgroup_id_y 0
		.amdhsa_system_sgpr_workgroup_id_z 0
		.amdhsa_system_sgpr_workgroup_info 0
		.amdhsa_system_vgpr_workitem_id 0
		.amdhsa_next_free_vgpr 22
		.amdhsa_next_free_sgpr 19
		.amdhsa_accum_offset 24
		.amdhsa_reserve_vcc 1
		.amdhsa_float_round_mode_32 0
		.amdhsa_float_round_mode_16_64 0
		.amdhsa_float_denorm_mode_32 3
		.amdhsa_float_denorm_mode_16_64 3
		.amdhsa_dx10_clamp 1
		.amdhsa_ieee_mode 1
		.amdhsa_fp16_overflow 0
		.amdhsa_tg_split 0
		.amdhsa_exception_fp_ieee_invalid_op 0
		.amdhsa_exception_fp_denorm_src 0
		.amdhsa_exception_fp_ieee_div_zero 0
		.amdhsa_exception_fp_ieee_overflow 0
		.amdhsa_exception_fp_ieee_underflow 0
		.amdhsa_exception_fp_ieee_inexact 0
		.amdhsa_exception_int_div_zero 0
	.end_amdhsa_kernel
	.section	.text._Z6kernelI14inclusive_scanILN6hipcub18BlockScanAlgorithmE0EEiLj64ELj16ELj100EEvPKT0_PS4_S4_,"axG",@progbits,_Z6kernelI14inclusive_scanILN6hipcub18BlockScanAlgorithmE0EEiLj64ELj16ELj100EEvPKT0_PS4_S4_,comdat
.Lfunc_end59:
	.size	_Z6kernelI14inclusive_scanILN6hipcub18BlockScanAlgorithmE0EEiLj64ELj16ELj100EEvPKT0_PS4_S4_, .Lfunc_end59-_Z6kernelI14inclusive_scanILN6hipcub18BlockScanAlgorithmE0EEiLj64ELj16ELj100EEvPKT0_PS4_S4_
                                        ; -- End function
	.section	.AMDGPU.csdata,"",@progbits
; Kernel info:
; codeLenInByte = 608
; NumSgprs: 25
; NumVgprs: 22
; NumAgprs: 0
; TotalNumVgprs: 22
; ScratchSize: 0
; MemoryBound: 0
; FloatMode: 240
; IeeeMode: 1
; LDSByteSize: 4 bytes/workgroup (compile time only)
; SGPRBlocks: 3
; VGPRBlocks: 2
; NumSGPRsForWavesPerEU: 25
; NumVGPRsForWavesPerEU: 22
; AccumOffset: 24
; Occupancy: 8
; WaveLimiterHint : 0
; COMPUTE_PGM_RSRC2:SCRATCH_EN: 0
; COMPUTE_PGM_RSRC2:USER_SGPR: 2
; COMPUTE_PGM_RSRC2:TRAP_HANDLER: 0
; COMPUTE_PGM_RSRC2:TGID_X_EN: 1
; COMPUTE_PGM_RSRC2:TGID_Y_EN: 0
; COMPUTE_PGM_RSRC2:TGID_Z_EN: 0
; COMPUTE_PGM_RSRC2:TIDIG_COMP_CNT: 0
; COMPUTE_PGM_RSRC3_GFX90A:ACCUM_OFFSET: 5
; COMPUTE_PGM_RSRC3_GFX90A:TG_SPLIT: 0
	.section	.text._Z6kernelI14inclusive_scanILN6hipcub18BlockScanAlgorithmE0EEfLj64ELj1ELj100EEvPKT0_PS4_S4_,"axG",@progbits,_Z6kernelI14inclusive_scanILN6hipcub18BlockScanAlgorithmE0EEfLj64ELj1ELj100EEvPKT0_PS4_S4_,comdat
	.protected	_Z6kernelI14inclusive_scanILN6hipcub18BlockScanAlgorithmE0EEfLj64ELj1ELj100EEvPKT0_PS4_S4_ ; -- Begin function _Z6kernelI14inclusive_scanILN6hipcub18BlockScanAlgorithmE0EEfLj64ELj1ELj100EEvPKT0_PS4_S4_
	.globl	_Z6kernelI14inclusive_scanILN6hipcub18BlockScanAlgorithmE0EEfLj64ELj1ELj100EEvPKT0_PS4_S4_
	.p2align	8
	.type	_Z6kernelI14inclusive_scanILN6hipcub18BlockScanAlgorithmE0EEfLj64ELj1ELj100EEvPKT0_PS4_S4_,@function
_Z6kernelI14inclusive_scanILN6hipcub18BlockScanAlgorithmE0EEfLj64ELj1ELj100EEvPKT0_PS4_S4_: ; @_Z6kernelI14inclusive_scanILN6hipcub18BlockScanAlgorithmE0EEfLj64ELj1ELj100EEvPKT0_PS4_S4_
; %bb.0:
	s_load_dwordx4 s[12:15], s[0:1], 0x0
	s_load_dword s3, s[0:1], 0x24
	v_mov_b32_e32 v3, 0
	v_cmp_eq_u32_e64 s[10:11], 63, v0
	s_movk_i32 s16, 0x64
	s_waitcnt lgkmcnt(0)
	v_mov_b32_e32 v4, s12
	s_and_b32 s0, s3, 0xffff
	s_mul_i32 s2, s2, s0
	v_mov_b32_e32 v5, s13
	v_add_u32_e32 v2, s2, v0
	v_lshl_add_u64 v[4:5], v[2:3], 2, v[4:5]
	global_load_dword v1, v[4:5], off
	v_mbcnt_lo_u32_b32 v4, -1, 0
	v_mbcnt_hi_u32_b32 v4, -1, v4
	v_and_b32_e32 v5, 15, v4
	v_cmp_eq_u32_e32 vcc, 0, v5
	v_cmp_lt_u32_e64 s[0:1], 1, v5
	v_cmp_lt_u32_e64 s[2:3], 3, v5
	;; [unrolled: 1-line block ×3, first 2 shown]
	v_and_b32_e32 v5, 16, v4
	v_cmp_eq_u32_e64 s[6:7], 0, v5
	v_cmp_lt_u32_e64 s[8:9], 31, v4
	s_branch .LBB60_2
.LBB60_1:                               ;   in Loop: Header=BB60_2 Depth=1
	s_or_b64 exec, exec, s[12:13]
	s_add_i32 s16, s16, -1
	s_cmp_lg_u32 s16, 0
	s_waitcnt lgkmcnt(0)
	; wave barrier
	s_waitcnt lgkmcnt(0)
	s_cbranch_scc0 .LBB60_4
.LBB60_2:                               ; =>This Inner Loop Header: Depth=1
	s_waitcnt vmcnt(0)
	v_mov_b32_dpp v0, v1 row_shr:1 row_mask:0xf bank_mask:0xf
	v_add_f32_e32 v0, v1, v0
	v_cndmask_b32_e32 v0, v0, v1, vcc
	s_nop 1
	v_mov_b32_dpp v1, v0 row_shr:2 row_mask:0xf bank_mask:0xf
	v_add_f32_e32 v1, v0, v1
	v_cndmask_b32_e64 v0, v0, v1, s[0:1]
	s_nop 1
	v_mov_b32_dpp v1, v0 row_shr:4 row_mask:0xf bank_mask:0xf
	v_add_f32_e32 v1, v0, v1
	v_cndmask_b32_e64 v0, v0, v1, s[2:3]
	;; [unrolled: 4-line block ×3, first 2 shown]
	s_nop 1
	v_mov_b32_dpp v1, v0 row_bcast:15 row_mask:0xf bank_mask:0xf
	v_add_f32_e32 v1, v0, v1
	v_cndmask_b32_e64 v0, v1, v0, s[6:7]
	s_nop 1
	v_mov_b32_dpp v1, v0 row_bcast:31 row_mask:0xf bank_mask:0xf
	v_add_f32_e32 v1, v0, v1
	v_cndmask_b32_e64 v1, v0, v1, s[8:9]
	s_and_saveexec_b64 s[12:13], s[10:11]
	s_cbranch_execz .LBB60_1
; %bb.3:                                ;   in Loop: Header=BB60_2 Depth=1
	ds_write_b32 v3, v1
	s_branch .LBB60_1
.LBB60_4:
	v_mov_b32_e32 v4, s14
	v_mov_b32_e32 v5, s15
	v_lshl_add_u64 v[2:3], v[2:3], 2, v[4:5]
	global_store_dword v[2:3], v1, off
	s_endpgm
	.section	.rodata,"a",@progbits
	.p2align	6, 0x0
	.amdhsa_kernel _Z6kernelI14inclusive_scanILN6hipcub18BlockScanAlgorithmE0EEfLj64ELj1ELj100EEvPKT0_PS4_S4_
		.amdhsa_group_segment_fixed_size 4
		.amdhsa_private_segment_fixed_size 0
		.amdhsa_kernarg_size 280
		.amdhsa_user_sgpr_count 2
		.amdhsa_user_sgpr_dispatch_ptr 0
		.amdhsa_user_sgpr_queue_ptr 0
		.amdhsa_user_sgpr_kernarg_segment_ptr 1
		.amdhsa_user_sgpr_dispatch_id 0
		.amdhsa_user_sgpr_kernarg_preload_length 0
		.amdhsa_user_sgpr_kernarg_preload_offset 0
		.amdhsa_user_sgpr_private_segment_size 0
		.amdhsa_uses_dynamic_stack 0
		.amdhsa_enable_private_segment 0
		.amdhsa_system_sgpr_workgroup_id_x 1
		.amdhsa_system_sgpr_workgroup_id_y 0
		.amdhsa_system_sgpr_workgroup_id_z 0
		.amdhsa_system_sgpr_workgroup_info 0
		.amdhsa_system_vgpr_workitem_id 0
		.amdhsa_next_free_vgpr 6
		.amdhsa_next_free_sgpr 17
		.amdhsa_accum_offset 8
		.amdhsa_reserve_vcc 1
		.amdhsa_float_round_mode_32 0
		.amdhsa_float_round_mode_16_64 0
		.amdhsa_float_denorm_mode_32 3
		.amdhsa_float_denorm_mode_16_64 3
		.amdhsa_dx10_clamp 1
		.amdhsa_ieee_mode 1
		.amdhsa_fp16_overflow 0
		.amdhsa_tg_split 0
		.amdhsa_exception_fp_ieee_invalid_op 0
		.amdhsa_exception_fp_denorm_src 0
		.amdhsa_exception_fp_ieee_div_zero 0
		.amdhsa_exception_fp_ieee_overflow 0
		.amdhsa_exception_fp_ieee_underflow 0
		.amdhsa_exception_fp_ieee_inexact 0
		.amdhsa_exception_int_div_zero 0
	.end_amdhsa_kernel
	.section	.text._Z6kernelI14inclusive_scanILN6hipcub18BlockScanAlgorithmE0EEfLj64ELj1ELj100EEvPKT0_PS4_S4_,"axG",@progbits,_Z6kernelI14inclusive_scanILN6hipcub18BlockScanAlgorithmE0EEfLj64ELj1ELj100EEvPKT0_PS4_S4_,comdat
.Lfunc_end60:
	.size	_Z6kernelI14inclusive_scanILN6hipcub18BlockScanAlgorithmE0EEfLj64ELj1ELj100EEvPKT0_PS4_S4_, .Lfunc_end60-_Z6kernelI14inclusive_scanILN6hipcub18BlockScanAlgorithmE0EEfLj64ELj1ELj100EEvPKT0_PS4_S4_
                                        ; -- End function
	.section	.AMDGPU.csdata,"",@progbits
; Kernel info:
; codeLenInByte = 360
; NumSgprs: 23
; NumVgprs: 6
; NumAgprs: 0
; TotalNumVgprs: 6
; ScratchSize: 0
; MemoryBound: 0
; FloatMode: 240
; IeeeMode: 1
; LDSByteSize: 4 bytes/workgroup (compile time only)
; SGPRBlocks: 2
; VGPRBlocks: 0
; NumSGPRsForWavesPerEU: 23
; NumVGPRsForWavesPerEU: 6
; AccumOffset: 8
; Occupancy: 8
; WaveLimiterHint : 0
; COMPUTE_PGM_RSRC2:SCRATCH_EN: 0
; COMPUTE_PGM_RSRC2:USER_SGPR: 2
; COMPUTE_PGM_RSRC2:TRAP_HANDLER: 0
; COMPUTE_PGM_RSRC2:TGID_X_EN: 1
; COMPUTE_PGM_RSRC2:TGID_Y_EN: 0
; COMPUTE_PGM_RSRC2:TGID_Z_EN: 0
; COMPUTE_PGM_RSRC2:TIDIG_COMP_CNT: 0
; COMPUTE_PGM_RSRC3_GFX90A:ACCUM_OFFSET: 1
; COMPUTE_PGM_RSRC3_GFX90A:TG_SPLIT: 0
	.section	.text._Z6kernelI14inclusive_scanILN6hipcub18BlockScanAlgorithmE0EEfLj64ELj3ELj100EEvPKT0_PS4_S4_,"axG",@progbits,_Z6kernelI14inclusive_scanILN6hipcub18BlockScanAlgorithmE0EEfLj64ELj3ELj100EEvPKT0_PS4_S4_,comdat
	.protected	_Z6kernelI14inclusive_scanILN6hipcub18BlockScanAlgorithmE0EEfLj64ELj3ELj100EEvPKT0_PS4_S4_ ; -- Begin function _Z6kernelI14inclusive_scanILN6hipcub18BlockScanAlgorithmE0EEfLj64ELj3ELj100EEvPKT0_PS4_S4_
	.globl	_Z6kernelI14inclusive_scanILN6hipcub18BlockScanAlgorithmE0EEfLj64ELj3ELj100EEvPKT0_PS4_S4_
	.p2align	8
	.type	_Z6kernelI14inclusive_scanILN6hipcub18BlockScanAlgorithmE0EEfLj64ELj3ELj100EEvPKT0_PS4_S4_,@function
_Z6kernelI14inclusive_scanILN6hipcub18BlockScanAlgorithmE0EEfLj64ELj3ELj100EEvPKT0_PS4_S4_: ; @_Z6kernelI14inclusive_scanILN6hipcub18BlockScanAlgorithmE0EEfLj64ELj3ELj100EEvPKT0_PS4_S4_
; %bb.0:
	s_load_dword s3, s[0:1], 0x24
	s_load_dwordx4 s[12:15], s[0:1], 0x0
	v_mov_b32_e32 v3, 0
	v_mov_b32_e32 v5, v3
	;; [unrolled: 1-line block ×3, first 2 shown]
	s_waitcnt lgkmcnt(0)
	s_and_b32 s0, s3, 0xffff
	s_mul_i32 s2, s2, s0
	v_add_u32_e32 v1, s2, v0
	v_lshl_add_u32 v2, v1, 1, v1
	v_lshl_add_u64 v[10:11], v[2:3], 2, s[12:13]
	v_add_u32_e32 v4, 1, v2
	v_add_u32_e32 v6, 2, v2
	v_lshl_add_u64 v[12:13], v[4:5], 2, s[12:13]
	v_lshl_add_u64 v[14:15], v[6:7], 2, s[12:13]
	global_load_dword v9, v[10:11], off
	global_load_dword v8, v[12:13], off
	;; [unrolled: 1-line block ×3, first 2 shown]
	v_mbcnt_lo_u32_b32 v10, -1, 0
	v_mbcnt_hi_u32_b32 v10, -1, v10
	v_and_b32_e32 v11, 15, v10
	v_cmp_eq_u32_e32 vcc, 0, v11
	v_cmp_lt_u32_e64 s[0:1], 1, v11
	v_cmp_lt_u32_e64 s[2:3], 3, v11
	;; [unrolled: 1-line block ×3, first 2 shown]
	v_and_b32_e32 v11, 16, v10
	v_cmp_eq_u32_e64 s[6:7], 0, v11
	v_add_u32_e32 v11, -1, v10
	v_and_b32_e32 v12, 64, v10
	v_cmp_lt_i32_e64 s[12:13], v11, v12
	v_cmp_lt_u32_e64 s[8:9], 31, v10
	v_cmp_eq_u32_e64 s[10:11], 63, v0
	v_cndmask_b32_e64 v10, v11, v10, s[12:13]
	v_lshlrev_b32_e32 v10, 2, v10
	v_cmp_eq_u32_e64 s[12:13], 0, v0
	s_movk_i32 s18, 0x64
	s_branch .LBB61_2
.LBB61_1:                               ;   in Loop: Header=BB61_2 Depth=1
	s_or_b64 exec, exec, s[16:17]
	ds_bpermute_b32 v0, v10, v0
	s_add_i32 s18, s18, -1
	s_cmp_lg_u32 s18, 0
	s_waitcnt lgkmcnt(0)
	; wave barrier
	s_waitcnt lgkmcnt(0)
	v_add_f32_e32 v0, v9, v0
	v_cndmask_b32_e64 v9, v0, v9, s[12:13]
	v_add_f32_e32 v8, v8, v9
	v_add_f32_e32 v1, v1, v8
	s_cbranch_scc0 .LBB61_4
.LBB61_2:                               ; =>This Inner Loop Header: Depth=1
	s_waitcnt vmcnt(1)
	v_add_f32_e32 v0, v9, v8
	s_waitcnt vmcnt(0)
	v_add_f32_e32 v0, v1, v0
	s_nop 1
	v_mov_b32_dpp v11, v0 row_shr:1 row_mask:0xf bank_mask:0xf
	v_add_f32_e32 v11, v0, v11
	v_cndmask_b32_e32 v0, v11, v0, vcc
	s_nop 1
	v_mov_b32_dpp v11, v0 row_shr:2 row_mask:0xf bank_mask:0xf
	v_add_f32_e32 v11, v0, v11
	v_cndmask_b32_e64 v0, v0, v11, s[0:1]
	s_nop 1
	v_mov_b32_dpp v11, v0 row_shr:4 row_mask:0xf bank_mask:0xf
	v_add_f32_e32 v11, v0, v11
	v_cndmask_b32_e64 v0, v0, v11, s[2:3]
	;; [unrolled: 4-line block ×3, first 2 shown]
	s_nop 1
	v_mov_b32_dpp v11, v0 row_bcast:15 row_mask:0xf bank_mask:0xf
	v_add_f32_e32 v11, v0, v11
	v_cndmask_b32_e64 v0, v11, v0, s[6:7]
	s_nop 1
	v_mov_b32_dpp v11, v0 row_bcast:31 row_mask:0xf bank_mask:0xf
	v_add_f32_e32 v11, v0, v11
	v_cndmask_b32_e64 v0, v0, v11, s[8:9]
	s_and_saveexec_b64 s[16:17], s[10:11]
	s_cbranch_execz .LBB61_1
; %bb.3:                                ;   in Loop: Header=BB61_2 Depth=1
	ds_write_b32 v3, v0
	s_branch .LBB61_1
.LBB61_4:
	v_lshl_add_u64 v[2:3], v[2:3], 2, s[14:15]
	global_store_dword v[2:3], v9, off
	v_lshl_add_u64 v[2:3], v[4:5], 2, s[14:15]
	global_store_dword v[2:3], v8, off
	;; [unrolled: 2-line block ×3, first 2 shown]
	s_endpgm
	.section	.rodata,"a",@progbits
	.p2align	6, 0x0
	.amdhsa_kernel _Z6kernelI14inclusive_scanILN6hipcub18BlockScanAlgorithmE0EEfLj64ELj3ELj100EEvPKT0_PS4_S4_
		.amdhsa_group_segment_fixed_size 4
		.amdhsa_private_segment_fixed_size 0
		.amdhsa_kernarg_size 280
		.amdhsa_user_sgpr_count 2
		.amdhsa_user_sgpr_dispatch_ptr 0
		.amdhsa_user_sgpr_queue_ptr 0
		.amdhsa_user_sgpr_kernarg_segment_ptr 1
		.amdhsa_user_sgpr_dispatch_id 0
		.amdhsa_user_sgpr_kernarg_preload_length 0
		.amdhsa_user_sgpr_kernarg_preload_offset 0
		.amdhsa_user_sgpr_private_segment_size 0
		.amdhsa_uses_dynamic_stack 0
		.amdhsa_enable_private_segment 0
		.amdhsa_system_sgpr_workgroup_id_x 1
		.amdhsa_system_sgpr_workgroup_id_y 0
		.amdhsa_system_sgpr_workgroup_id_z 0
		.amdhsa_system_sgpr_workgroup_info 0
		.amdhsa_system_vgpr_workitem_id 0
		.amdhsa_next_free_vgpr 16
		.amdhsa_next_free_sgpr 19
		.amdhsa_accum_offset 16
		.amdhsa_reserve_vcc 1
		.amdhsa_float_round_mode_32 0
		.amdhsa_float_round_mode_16_64 0
		.amdhsa_float_denorm_mode_32 3
		.amdhsa_float_denorm_mode_16_64 3
		.amdhsa_dx10_clamp 1
		.amdhsa_ieee_mode 1
		.amdhsa_fp16_overflow 0
		.amdhsa_tg_split 0
		.amdhsa_exception_fp_ieee_invalid_op 0
		.amdhsa_exception_fp_denorm_src 0
		.amdhsa_exception_fp_ieee_div_zero 0
		.amdhsa_exception_fp_ieee_overflow 0
		.amdhsa_exception_fp_ieee_underflow 0
		.amdhsa_exception_fp_ieee_inexact 0
		.amdhsa_exception_int_div_zero 0
	.end_amdhsa_kernel
	.section	.text._Z6kernelI14inclusive_scanILN6hipcub18BlockScanAlgorithmE0EEfLj64ELj3ELj100EEvPKT0_PS4_S4_,"axG",@progbits,_Z6kernelI14inclusive_scanILN6hipcub18BlockScanAlgorithmE0EEfLj64ELj3ELj100EEvPKT0_PS4_S4_,comdat
.Lfunc_end61:
	.size	_Z6kernelI14inclusive_scanILN6hipcub18BlockScanAlgorithmE0EEfLj64ELj3ELj100EEvPKT0_PS4_S4_, .Lfunc_end61-_Z6kernelI14inclusive_scanILN6hipcub18BlockScanAlgorithmE0EEfLj64ELj3ELj100EEvPKT0_PS4_S4_
                                        ; -- End function
	.section	.AMDGPU.csdata,"",@progbits
; Kernel info:
; codeLenInByte = 512
; NumSgprs: 25
; NumVgprs: 16
; NumAgprs: 0
; TotalNumVgprs: 16
; ScratchSize: 0
; MemoryBound: 0
; FloatMode: 240
; IeeeMode: 1
; LDSByteSize: 4 bytes/workgroup (compile time only)
; SGPRBlocks: 3
; VGPRBlocks: 1
; NumSGPRsForWavesPerEU: 25
; NumVGPRsForWavesPerEU: 16
; AccumOffset: 16
; Occupancy: 8
; WaveLimiterHint : 0
; COMPUTE_PGM_RSRC2:SCRATCH_EN: 0
; COMPUTE_PGM_RSRC2:USER_SGPR: 2
; COMPUTE_PGM_RSRC2:TRAP_HANDLER: 0
; COMPUTE_PGM_RSRC2:TGID_X_EN: 1
; COMPUTE_PGM_RSRC2:TGID_Y_EN: 0
; COMPUTE_PGM_RSRC2:TGID_Z_EN: 0
; COMPUTE_PGM_RSRC2:TIDIG_COMP_CNT: 0
; COMPUTE_PGM_RSRC3_GFX90A:ACCUM_OFFSET: 3
; COMPUTE_PGM_RSRC3_GFX90A:TG_SPLIT: 0
	.section	.text._Z6kernelI14inclusive_scanILN6hipcub18BlockScanAlgorithmE0EEfLj64ELj4ELj100EEvPKT0_PS4_S4_,"axG",@progbits,_Z6kernelI14inclusive_scanILN6hipcub18BlockScanAlgorithmE0EEfLj64ELj4ELj100EEvPKT0_PS4_S4_,comdat
	.protected	_Z6kernelI14inclusive_scanILN6hipcub18BlockScanAlgorithmE0EEfLj64ELj4ELj100EEvPKT0_PS4_S4_ ; -- Begin function _Z6kernelI14inclusive_scanILN6hipcub18BlockScanAlgorithmE0EEfLj64ELj4ELj100EEvPKT0_PS4_S4_
	.globl	_Z6kernelI14inclusive_scanILN6hipcub18BlockScanAlgorithmE0EEfLj64ELj4ELj100EEvPKT0_PS4_S4_
	.p2align	8
	.type	_Z6kernelI14inclusive_scanILN6hipcub18BlockScanAlgorithmE0EEfLj64ELj4ELj100EEvPKT0_PS4_S4_,@function
_Z6kernelI14inclusive_scanILN6hipcub18BlockScanAlgorithmE0EEfLj64ELj4ELj100EEvPKT0_PS4_S4_: ; @_Z6kernelI14inclusive_scanILN6hipcub18BlockScanAlgorithmE0EEfLj64ELj4ELj100EEvPKT0_PS4_S4_
; %bb.0:
	s_load_dwordx4 s[12:15], s[0:1], 0x0
	s_load_dword s3, s[0:1], 0x24
	v_mov_b32_e32 v7, 0
	v_mbcnt_lo_u32_b32 v1, -1, 0
	v_mbcnt_hi_u32_b32 v1, -1, v1
	s_waitcnt lgkmcnt(0)
	v_mov_b32_e32 v2, s12
	s_and_b32 s0, s3, 0xffff
	s_mul_i32 s2, s2, s0
	v_mov_b32_e32 v3, s13
	v_add_lshl_u32 v6, s2, v0, 2
	v_lshl_add_u64 v[2:3], v[6:7], 2, v[2:3]
	global_load_dwordx4 v[2:5], v[2:3], off
	v_and_b32_e32 v8, 15, v1
	v_cmp_eq_u32_e32 vcc, 0, v8
	v_cmp_lt_u32_e64 s[0:1], 1, v8
	v_cmp_lt_u32_e64 s[2:3], 3, v8
	;; [unrolled: 1-line block ×3, first 2 shown]
	v_and_b32_e32 v8, 16, v1
	v_cmp_eq_u32_e64 s[6:7], 0, v8
	v_add_u32_e32 v8, -1, v1
	v_and_b32_e32 v9, 64, v1
	v_cmp_lt_i32_e64 s[12:13], v8, v9
	v_cmp_lt_u32_e64 s[8:9], 31, v1
	v_cmp_eq_u32_e64 s[10:11], 63, v0
	v_cndmask_b32_e64 v1, v8, v1, s[12:13]
	v_lshlrev_b32_e32 v1, 2, v1
	v_cmp_eq_u32_e64 s[12:13], 0, v0
	s_movk_i32 s18, 0x64
	s_branch .LBB62_2
.LBB62_1:                               ;   in Loop: Header=BB62_2 Depth=1
	s_or_b64 exec, exec, s[16:17]
	ds_bpermute_b32 v0, v1, v0
	s_add_i32 s18, s18, -1
	s_cmp_lg_u32 s18, 0
	s_waitcnt lgkmcnt(0)
	; wave barrier
	s_waitcnt lgkmcnt(0)
	v_add_f32_e32 v0, v2, v0
	v_cndmask_b32_e64 v2, v0, v2, s[12:13]
	v_add_f32_e32 v3, v3, v2
	v_add_f32_e32 v4, v4, v3
	;; [unrolled: 1-line block ×3, first 2 shown]
	s_cbranch_scc0 .LBB62_4
.LBB62_2:                               ; =>This Inner Loop Header: Depth=1
	s_waitcnt vmcnt(0)
	v_add_f32_e32 v0, v2, v3
	v_add_f32_e32 v0, v4, v0
	;; [unrolled: 1-line block ×3, first 2 shown]
	s_nop 1
	v_mov_b32_dpp v8, v0 row_shr:1 row_mask:0xf bank_mask:0xf
	v_add_f32_e32 v8, v0, v8
	v_cndmask_b32_e32 v0, v8, v0, vcc
	s_nop 1
	v_mov_b32_dpp v8, v0 row_shr:2 row_mask:0xf bank_mask:0xf
	v_add_f32_e32 v8, v0, v8
	v_cndmask_b32_e64 v0, v0, v8, s[0:1]
	s_nop 1
	v_mov_b32_dpp v8, v0 row_shr:4 row_mask:0xf bank_mask:0xf
	v_add_f32_e32 v8, v0, v8
	v_cndmask_b32_e64 v0, v0, v8, s[2:3]
	;; [unrolled: 4-line block ×3, first 2 shown]
	s_nop 1
	v_mov_b32_dpp v8, v0 row_bcast:15 row_mask:0xf bank_mask:0xf
	v_add_f32_e32 v8, v0, v8
	v_cndmask_b32_e64 v0, v8, v0, s[6:7]
	s_nop 1
	v_mov_b32_dpp v8, v0 row_bcast:31 row_mask:0xf bank_mask:0xf
	v_add_f32_e32 v8, v0, v8
	v_cndmask_b32_e64 v0, v0, v8, s[8:9]
	s_and_saveexec_b64 s[16:17], s[10:11]
	s_cbranch_execz .LBB62_1
; %bb.3:                                ;   in Loop: Header=BB62_2 Depth=1
	ds_write_b32 v7, v0
	s_branch .LBB62_1
.LBB62_4:
	v_mov_b32_e32 v0, s14
	v_mov_b32_e32 v1, s15
	v_lshl_add_u64 v[0:1], v[6:7], 2, v[0:1]
	global_store_dwordx4 v[0:1], v[2:5], off
	s_endpgm
	.section	.rodata,"a",@progbits
	.p2align	6, 0x0
	.amdhsa_kernel _Z6kernelI14inclusive_scanILN6hipcub18BlockScanAlgorithmE0EEfLj64ELj4ELj100EEvPKT0_PS4_S4_
		.amdhsa_group_segment_fixed_size 4
		.amdhsa_private_segment_fixed_size 0
		.amdhsa_kernarg_size 280
		.amdhsa_user_sgpr_count 2
		.amdhsa_user_sgpr_dispatch_ptr 0
		.amdhsa_user_sgpr_queue_ptr 0
		.amdhsa_user_sgpr_kernarg_segment_ptr 1
		.amdhsa_user_sgpr_dispatch_id 0
		.amdhsa_user_sgpr_kernarg_preload_length 0
		.amdhsa_user_sgpr_kernarg_preload_offset 0
		.amdhsa_user_sgpr_private_segment_size 0
		.amdhsa_uses_dynamic_stack 0
		.amdhsa_enable_private_segment 0
		.amdhsa_system_sgpr_workgroup_id_x 1
		.amdhsa_system_sgpr_workgroup_id_y 0
		.amdhsa_system_sgpr_workgroup_id_z 0
		.amdhsa_system_sgpr_workgroup_info 0
		.amdhsa_system_vgpr_workitem_id 0
		.amdhsa_next_free_vgpr 10
		.amdhsa_next_free_sgpr 19
		.amdhsa_accum_offset 12
		.amdhsa_reserve_vcc 1
		.amdhsa_float_round_mode_32 0
		.amdhsa_float_round_mode_16_64 0
		.amdhsa_float_denorm_mode_32 3
		.amdhsa_float_denorm_mode_16_64 3
		.amdhsa_dx10_clamp 1
		.amdhsa_ieee_mode 1
		.amdhsa_fp16_overflow 0
		.amdhsa_tg_split 0
		.amdhsa_exception_fp_ieee_invalid_op 0
		.amdhsa_exception_fp_denorm_src 0
		.amdhsa_exception_fp_ieee_div_zero 0
		.amdhsa_exception_fp_ieee_overflow 0
		.amdhsa_exception_fp_ieee_underflow 0
		.amdhsa_exception_fp_ieee_inexact 0
		.amdhsa_exception_int_div_zero 0
	.end_amdhsa_kernel
	.section	.text._Z6kernelI14inclusive_scanILN6hipcub18BlockScanAlgorithmE0EEfLj64ELj4ELj100EEvPKT0_PS4_S4_,"axG",@progbits,_Z6kernelI14inclusive_scanILN6hipcub18BlockScanAlgorithmE0EEfLj64ELj4ELj100EEvPKT0_PS4_S4_,comdat
.Lfunc_end62:
	.size	_Z6kernelI14inclusive_scanILN6hipcub18BlockScanAlgorithmE0EEfLj64ELj4ELj100EEvPKT0_PS4_S4_, .Lfunc_end62-_Z6kernelI14inclusive_scanILN6hipcub18BlockScanAlgorithmE0EEfLj64ELj4ELj100EEvPKT0_PS4_S4_
                                        ; -- End function
	.section	.AMDGPU.csdata,"",@progbits
; Kernel info:
; codeLenInByte = 448
; NumSgprs: 25
; NumVgprs: 10
; NumAgprs: 0
; TotalNumVgprs: 10
; ScratchSize: 0
; MemoryBound: 0
; FloatMode: 240
; IeeeMode: 1
; LDSByteSize: 4 bytes/workgroup (compile time only)
; SGPRBlocks: 3
; VGPRBlocks: 1
; NumSGPRsForWavesPerEU: 25
; NumVGPRsForWavesPerEU: 10
; AccumOffset: 12
; Occupancy: 8
; WaveLimiterHint : 0
; COMPUTE_PGM_RSRC2:SCRATCH_EN: 0
; COMPUTE_PGM_RSRC2:USER_SGPR: 2
; COMPUTE_PGM_RSRC2:TRAP_HANDLER: 0
; COMPUTE_PGM_RSRC2:TGID_X_EN: 1
; COMPUTE_PGM_RSRC2:TGID_Y_EN: 0
; COMPUTE_PGM_RSRC2:TGID_Z_EN: 0
; COMPUTE_PGM_RSRC2:TIDIG_COMP_CNT: 0
; COMPUTE_PGM_RSRC3_GFX90A:ACCUM_OFFSET: 2
; COMPUTE_PGM_RSRC3_GFX90A:TG_SPLIT: 0
	.section	.text._Z6kernelI14inclusive_scanILN6hipcub18BlockScanAlgorithmE0EEfLj64ELj8ELj100EEvPKT0_PS4_S4_,"axG",@progbits,_Z6kernelI14inclusive_scanILN6hipcub18BlockScanAlgorithmE0EEfLj64ELj8ELj100EEvPKT0_PS4_S4_,comdat
	.protected	_Z6kernelI14inclusive_scanILN6hipcub18BlockScanAlgorithmE0EEfLj64ELj8ELj100EEvPKT0_PS4_S4_ ; -- Begin function _Z6kernelI14inclusive_scanILN6hipcub18BlockScanAlgorithmE0EEfLj64ELj8ELj100EEvPKT0_PS4_S4_
	.globl	_Z6kernelI14inclusive_scanILN6hipcub18BlockScanAlgorithmE0EEfLj64ELj8ELj100EEvPKT0_PS4_S4_
	.p2align	8
	.type	_Z6kernelI14inclusive_scanILN6hipcub18BlockScanAlgorithmE0EEfLj64ELj8ELj100EEvPKT0_PS4_S4_,@function
_Z6kernelI14inclusive_scanILN6hipcub18BlockScanAlgorithmE0EEfLj64ELj8ELj100EEvPKT0_PS4_S4_: ; @_Z6kernelI14inclusive_scanILN6hipcub18BlockScanAlgorithmE0EEfLj64ELj8ELj100EEvPKT0_PS4_S4_
; %bb.0:
	s_load_dwordx4 s[12:15], s[0:1], 0x0
	s_load_dword s3, s[0:1], 0x24
	v_mov_b32_e32 v11, 0
	v_mbcnt_lo_u32_b32 v1, -1, 0
	v_mbcnt_hi_u32_b32 v1, -1, v1
	s_waitcnt lgkmcnt(0)
	v_mov_b32_e32 v2, s12
	s_and_b32 s0, s3, 0xffff
	s_mul_i32 s2, s2, s0
	v_mov_b32_e32 v3, s13
	v_add_lshl_u32 v10, s2, v0, 3
	v_lshl_add_u64 v[12:13], v[10:11], 2, v[2:3]
	global_load_dwordx4 v[2:5], v[12:13], off
	global_load_dwordx4 v[6:9], v[12:13], off offset:16
	v_and_b32_e32 v12, 15, v1
	v_cmp_eq_u32_e32 vcc, 0, v12
	v_cmp_lt_u32_e64 s[0:1], 1, v12
	v_cmp_lt_u32_e64 s[2:3], 3, v12
	;; [unrolled: 1-line block ×3, first 2 shown]
	v_and_b32_e32 v12, 16, v1
	v_cmp_eq_u32_e64 s[6:7], 0, v12
	v_add_u32_e32 v12, -1, v1
	v_and_b32_e32 v13, 64, v1
	v_cmp_lt_i32_e64 s[12:13], v12, v13
	v_cmp_lt_u32_e64 s[8:9], 31, v1
	v_cmp_eq_u32_e64 s[10:11], 63, v0
	v_cndmask_b32_e64 v1, v12, v1, s[12:13]
	v_lshlrev_b32_e32 v1, 2, v1
	v_cmp_eq_u32_e64 s[12:13], 0, v0
	s_movk_i32 s18, 0x64
	s_branch .LBB63_2
.LBB63_1:                               ;   in Loop: Header=BB63_2 Depth=1
	s_or_b64 exec, exec, s[16:17]
	ds_bpermute_b32 v0, v1, v0
	s_add_i32 s18, s18, -1
	s_cmp_lg_u32 s18, 0
	s_waitcnt lgkmcnt(0)
	; wave barrier
	s_waitcnt lgkmcnt(0)
	v_add_f32_e32 v0, v2, v0
	v_cndmask_b32_e64 v2, v0, v2, s[12:13]
	v_add_f32_e32 v3, v3, v2
	v_add_f32_e32 v4, v4, v3
	;; [unrolled: 1-line block ×7, first 2 shown]
	s_cbranch_scc0 .LBB63_4
.LBB63_2:                               ; =>This Inner Loop Header: Depth=1
	s_waitcnt vmcnt(1)
	v_add_f32_e32 v0, v2, v3
	v_add_f32_e32 v0, v4, v0
	;; [unrolled: 1-line block ×3, first 2 shown]
	s_waitcnt vmcnt(0)
	v_add_f32_e32 v0, v6, v0
	v_add_f32_e32 v0, v7, v0
	;; [unrolled: 1-line block ×4, first 2 shown]
	s_nop 1
	v_mov_b32_dpp v12, v0 row_shr:1 row_mask:0xf bank_mask:0xf
	v_add_f32_e32 v12, v0, v12
	v_cndmask_b32_e32 v0, v12, v0, vcc
	s_nop 1
	v_mov_b32_dpp v12, v0 row_shr:2 row_mask:0xf bank_mask:0xf
	v_add_f32_e32 v12, v0, v12
	v_cndmask_b32_e64 v0, v0, v12, s[0:1]
	s_nop 1
	v_mov_b32_dpp v12, v0 row_shr:4 row_mask:0xf bank_mask:0xf
	v_add_f32_e32 v12, v0, v12
	v_cndmask_b32_e64 v0, v0, v12, s[2:3]
	;; [unrolled: 4-line block ×3, first 2 shown]
	s_nop 1
	v_mov_b32_dpp v12, v0 row_bcast:15 row_mask:0xf bank_mask:0xf
	v_add_f32_e32 v12, v0, v12
	v_cndmask_b32_e64 v0, v12, v0, s[6:7]
	s_nop 1
	v_mov_b32_dpp v12, v0 row_bcast:31 row_mask:0xf bank_mask:0xf
	v_add_f32_e32 v12, v0, v12
	v_cndmask_b32_e64 v0, v0, v12, s[8:9]
	s_and_saveexec_b64 s[16:17], s[10:11]
	s_cbranch_execz .LBB63_1
; %bb.3:                                ;   in Loop: Header=BB63_2 Depth=1
	ds_write_b32 v11, v0
	s_branch .LBB63_1
.LBB63_4:
	v_mov_b32_e32 v0, s14
	v_mov_b32_e32 v1, s15
	v_lshl_add_u64 v[10:11], v[10:11], 2, v[0:1]
	global_store_dwordx3 v[10:11], v[2:4], off
	v_mov_b32_e32 v0, v5
	v_mov_b32_e32 v1, v6
	;; [unrolled: 1-line block ×4, first 2 shown]
	global_store_dwordx4 v[10:11], v[0:3], off offset:12
	global_store_dword v[10:11], v9, off offset:28
	s_endpgm
	.section	.rodata,"a",@progbits
	.p2align	6, 0x0
	.amdhsa_kernel _Z6kernelI14inclusive_scanILN6hipcub18BlockScanAlgorithmE0EEfLj64ELj8ELj100EEvPKT0_PS4_S4_
		.amdhsa_group_segment_fixed_size 4
		.amdhsa_private_segment_fixed_size 0
		.amdhsa_kernarg_size 280
		.amdhsa_user_sgpr_count 2
		.amdhsa_user_sgpr_dispatch_ptr 0
		.amdhsa_user_sgpr_queue_ptr 0
		.amdhsa_user_sgpr_kernarg_segment_ptr 1
		.amdhsa_user_sgpr_dispatch_id 0
		.amdhsa_user_sgpr_kernarg_preload_length 0
		.amdhsa_user_sgpr_kernarg_preload_offset 0
		.amdhsa_user_sgpr_private_segment_size 0
		.amdhsa_uses_dynamic_stack 0
		.amdhsa_enable_private_segment 0
		.amdhsa_system_sgpr_workgroup_id_x 1
		.amdhsa_system_sgpr_workgroup_id_y 0
		.amdhsa_system_sgpr_workgroup_id_z 0
		.amdhsa_system_sgpr_workgroup_info 0
		.amdhsa_system_vgpr_workitem_id 0
		.amdhsa_next_free_vgpr 14
		.amdhsa_next_free_sgpr 19
		.amdhsa_accum_offset 16
		.amdhsa_reserve_vcc 1
		.amdhsa_float_round_mode_32 0
		.amdhsa_float_round_mode_16_64 0
		.amdhsa_float_denorm_mode_32 3
		.amdhsa_float_denorm_mode_16_64 3
		.amdhsa_dx10_clamp 1
		.amdhsa_ieee_mode 1
		.amdhsa_fp16_overflow 0
		.amdhsa_tg_split 0
		.amdhsa_exception_fp_ieee_invalid_op 0
		.amdhsa_exception_fp_denorm_src 0
		.amdhsa_exception_fp_ieee_div_zero 0
		.amdhsa_exception_fp_ieee_overflow 0
		.amdhsa_exception_fp_ieee_underflow 0
		.amdhsa_exception_fp_ieee_inexact 0
		.amdhsa_exception_int_div_zero 0
	.end_amdhsa_kernel
	.section	.text._Z6kernelI14inclusive_scanILN6hipcub18BlockScanAlgorithmE0EEfLj64ELj8ELj100EEvPKT0_PS4_S4_,"axG",@progbits,_Z6kernelI14inclusive_scanILN6hipcub18BlockScanAlgorithmE0EEfLj64ELj8ELj100EEvPKT0_PS4_S4_,comdat
.Lfunc_end63:
	.size	_Z6kernelI14inclusive_scanILN6hipcub18BlockScanAlgorithmE0EEfLj64ELj8ELj100EEvPKT0_PS4_S4_, .Lfunc_end63-_Z6kernelI14inclusive_scanILN6hipcub18BlockScanAlgorithmE0EEfLj64ELj8ELj100EEvPKT0_PS4_S4_
                                        ; -- End function
	.section	.AMDGPU.csdata,"",@progbits
; Kernel info:
; codeLenInByte = 524
; NumSgprs: 25
; NumVgprs: 14
; NumAgprs: 0
; TotalNumVgprs: 14
; ScratchSize: 0
; MemoryBound: 0
; FloatMode: 240
; IeeeMode: 1
; LDSByteSize: 4 bytes/workgroup (compile time only)
; SGPRBlocks: 3
; VGPRBlocks: 1
; NumSGPRsForWavesPerEU: 25
; NumVGPRsForWavesPerEU: 14
; AccumOffset: 16
; Occupancy: 8
; WaveLimiterHint : 0
; COMPUTE_PGM_RSRC2:SCRATCH_EN: 0
; COMPUTE_PGM_RSRC2:USER_SGPR: 2
; COMPUTE_PGM_RSRC2:TRAP_HANDLER: 0
; COMPUTE_PGM_RSRC2:TGID_X_EN: 1
; COMPUTE_PGM_RSRC2:TGID_Y_EN: 0
; COMPUTE_PGM_RSRC2:TGID_Z_EN: 0
; COMPUTE_PGM_RSRC2:TIDIG_COMP_CNT: 0
; COMPUTE_PGM_RSRC3_GFX90A:ACCUM_OFFSET: 3
; COMPUTE_PGM_RSRC3_GFX90A:TG_SPLIT: 0
	.section	.text._Z6kernelI14inclusive_scanILN6hipcub18BlockScanAlgorithmE0EEfLj64ELj11ELj100EEvPKT0_PS4_S4_,"axG",@progbits,_Z6kernelI14inclusive_scanILN6hipcub18BlockScanAlgorithmE0EEfLj64ELj11ELj100EEvPKT0_PS4_S4_,comdat
	.protected	_Z6kernelI14inclusive_scanILN6hipcub18BlockScanAlgorithmE0EEfLj64ELj11ELj100EEvPKT0_PS4_S4_ ; -- Begin function _Z6kernelI14inclusive_scanILN6hipcub18BlockScanAlgorithmE0EEfLj64ELj11ELj100EEvPKT0_PS4_S4_
	.globl	_Z6kernelI14inclusive_scanILN6hipcub18BlockScanAlgorithmE0EEfLj64ELj11ELj100EEvPKT0_PS4_S4_
	.p2align	8
	.type	_Z6kernelI14inclusive_scanILN6hipcub18BlockScanAlgorithmE0EEfLj64ELj11ELj100EEvPKT0_PS4_S4_,@function
_Z6kernelI14inclusive_scanILN6hipcub18BlockScanAlgorithmE0EEfLj64ELj11ELj100EEvPKT0_PS4_S4_: ; @_Z6kernelI14inclusive_scanILN6hipcub18BlockScanAlgorithmE0EEfLj64ELj11ELj100EEvPKT0_PS4_S4_
; %bb.0:
	s_load_dword s3, s[0:1], 0x24
	s_load_dwordx4 s[12:15], s[0:1], 0x0
	v_mov_b32_e32 v3, 0
	v_mov_b32_e32 v5, v3
	;; [unrolled: 1-line block ×3, first 2 shown]
	s_waitcnt lgkmcnt(0)
	s_and_b32 s0, s3, 0xffff
	s_mul_i32 s2, s2, s0
	v_add_u32_e32 v1, s2, v0
	v_mul_lo_u32 v2, v1, 11
	v_lshl_add_u64 v[18:19], v[2:3], 2, s[12:13]
	v_add_u32_e32 v4, 1, v2
	v_add_u32_e32 v6, 2, v2
	;; [unrolled: 1-line block ×3, first 2 shown]
	v_mov_b32_e32 v9, v3
	v_add_u32_e32 v10, 4, v2
	v_mov_b32_e32 v11, v3
	v_add_u32_e32 v12, 5, v2
	;; [unrolled: 2-line block ×4, first 2 shown]
	v_mov_b32_e32 v17, v3
	v_lshl_add_u64 v[20:21], v[4:5], 2, s[12:13]
	v_lshl_add_u64 v[22:23], v[6:7], 2, s[12:13]
	;; [unrolled: 1-line block ×7, first 2 shown]
	global_load_dword v30, v[18:19], off
	global_load_dword v29, v[20:21], off
	;; [unrolled: 1-line block ×8, first 2 shown]
	v_add_u32_e32 v18, 8, v2
	v_mov_b32_e32 v19, v3
	v_lshl_add_u64 v[34:35], v[18:19], 2, s[12:13]
	v_add_u32_e32 v20, 9, v2
	v_mov_b32_e32 v21, v3
	v_add_u32_e32 v22, 10, v2
	v_mov_b32_e32 v23, v3
	v_lshl_add_u64 v[36:37], v[20:21], 2, s[12:13]
	v_lshl_add_u64 v[38:39], v[22:23], 2, s[12:13]
	global_load_dword v33, v[34:35], off
	global_load_dword v32, v[36:37], off
	;; [unrolled: 1-line block ×3, first 2 shown]
	v_mbcnt_lo_u32_b32 v34, -1, 0
	v_mbcnt_hi_u32_b32 v34, -1, v34
	v_and_b32_e32 v35, 15, v34
	v_cmp_eq_u32_e32 vcc, 0, v35
	v_cmp_lt_u32_e64 s[0:1], 1, v35
	v_cmp_lt_u32_e64 s[2:3], 3, v35
	;; [unrolled: 1-line block ×3, first 2 shown]
	v_and_b32_e32 v35, 16, v34
	v_cmp_eq_u32_e64 s[6:7], 0, v35
	v_add_u32_e32 v35, -1, v34
	v_and_b32_e32 v36, 64, v34
	v_cmp_lt_i32_e64 s[12:13], v35, v36
	v_cmp_lt_u32_e64 s[8:9], 31, v34
	v_cmp_eq_u32_e64 s[10:11], 63, v0
	v_cndmask_b32_e64 v34, v35, v34, s[12:13]
	v_lshlrev_b32_e32 v34, 2, v34
	v_cmp_eq_u32_e64 s[12:13], 0, v0
	s_movk_i32 s18, 0x64
	s_branch .LBB64_2
.LBB64_1:                               ;   in Loop: Header=BB64_2 Depth=1
	s_or_b64 exec, exec, s[16:17]
	ds_bpermute_b32 v0, v34, v0
	s_add_i32 s18, s18, -1
	s_cmp_lg_u32 s18, 0
	s_waitcnt lgkmcnt(0)
	; wave barrier
	s_waitcnt lgkmcnt(0)
	v_add_f32_e32 v0, v30, v0
	v_cndmask_b32_e64 v30, v0, v30, s[12:13]
	v_add_f32_e32 v29, v29, v30
	v_add_f32_e32 v28, v28, v29
	;; [unrolled: 1-line block ×10, first 2 shown]
	s_cbranch_scc0 .LBB64_4
.LBB64_2:                               ; =>This Inner Loop Header: Depth=1
	s_waitcnt vmcnt(9)
	v_add_f32_e32 v0, v29, v30
	s_waitcnt vmcnt(8)
	v_add_f32_e32 v0, v28, v0
	;; [unrolled: 2-line block ×10, first 2 shown]
	s_nop 1
	v_mov_b32_dpp v35, v0 row_shr:1 row_mask:0xf bank_mask:0xf
	v_add_f32_e32 v35, v0, v35
	v_cndmask_b32_e32 v0, v35, v0, vcc
	s_nop 1
	v_mov_b32_dpp v35, v0 row_shr:2 row_mask:0xf bank_mask:0xf
	v_add_f32_e32 v35, v0, v35
	v_cndmask_b32_e64 v0, v0, v35, s[0:1]
	s_nop 1
	v_mov_b32_dpp v35, v0 row_shr:4 row_mask:0xf bank_mask:0xf
	v_add_f32_e32 v35, v0, v35
	v_cndmask_b32_e64 v0, v0, v35, s[2:3]
	;; [unrolled: 4-line block ×3, first 2 shown]
	s_nop 1
	v_mov_b32_dpp v35, v0 row_bcast:15 row_mask:0xf bank_mask:0xf
	v_add_f32_e32 v35, v0, v35
	v_cndmask_b32_e64 v0, v35, v0, s[6:7]
	s_nop 1
	v_mov_b32_dpp v35, v0 row_bcast:31 row_mask:0xf bank_mask:0xf
	v_add_f32_e32 v35, v0, v35
	v_cndmask_b32_e64 v0, v0, v35, s[8:9]
	s_and_saveexec_b64 s[16:17], s[10:11]
	s_cbranch_execz .LBB64_1
; %bb.3:                                ;   in Loop: Header=BB64_2 Depth=1
	ds_write_b32 v3, v0
	s_branch .LBB64_1
.LBB64_4:
	v_lshl_add_u64 v[2:3], v[2:3], 2, s[14:15]
	global_store_dword v[2:3], v30, off
	v_lshl_add_u64 v[2:3], v[4:5], 2, s[14:15]
	global_store_dword v[2:3], v29, off
	;; [unrolled: 2-line block ×11, first 2 shown]
	s_endpgm
	.section	.rodata,"a",@progbits
	.p2align	6, 0x0
	.amdhsa_kernel _Z6kernelI14inclusive_scanILN6hipcub18BlockScanAlgorithmE0EEfLj64ELj11ELj100EEvPKT0_PS4_S4_
		.amdhsa_group_segment_fixed_size 4
		.amdhsa_private_segment_fixed_size 0
		.amdhsa_kernarg_size 280
		.amdhsa_user_sgpr_count 2
		.amdhsa_user_sgpr_dispatch_ptr 0
		.amdhsa_user_sgpr_queue_ptr 0
		.amdhsa_user_sgpr_kernarg_segment_ptr 1
		.amdhsa_user_sgpr_dispatch_id 0
		.amdhsa_user_sgpr_kernarg_preload_length 0
		.amdhsa_user_sgpr_kernarg_preload_offset 0
		.amdhsa_user_sgpr_private_segment_size 0
		.amdhsa_uses_dynamic_stack 0
		.amdhsa_enable_private_segment 0
		.amdhsa_system_sgpr_workgroup_id_x 1
		.amdhsa_system_sgpr_workgroup_id_y 0
		.amdhsa_system_sgpr_workgroup_id_z 0
		.amdhsa_system_sgpr_workgroup_info 0
		.amdhsa_system_vgpr_workitem_id 0
		.amdhsa_next_free_vgpr 42
		.amdhsa_next_free_sgpr 19
		.amdhsa_accum_offset 44
		.amdhsa_reserve_vcc 1
		.amdhsa_float_round_mode_32 0
		.amdhsa_float_round_mode_16_64 0
		.amdhsa_float_denorm_mode_32 3
		.amdhsa_float_denorm_mode_16_64 3
		.amdhsa_dx10_clamp 1
		.amdhsa_ieee_mode 1
		.amdhsa_fp16_overflow 0
		.amdhsa_tg_split 0
		.amdhsa_exception_fp_ieee_invalid_op 0
		.amdhsa_exception_fp_denorm_src 0
		.amdhsa_exception_fp_ieee_div_zero 0
		.amdhsa_exception_fp_ieee_overflow 0
		.amdhsa_exception_fp_ieee_underflow 0
		.amdhsa_exception_fp_ieee_inexact 0
		.amdhsa_exception_int_div_zero 0
	.end_amdhsa_kernel
	.section	.text._Z6kernelI14inclusive_scanILN6hipcub18BlockScanAlgorithmE0EEfLj64ELj11ELj100EEvPKT0_PS4_S4_,"axG",@progbits,_Z6kernelI14inclusive_scanILN6hipcub18BlockScanAlgorithmE0EEfLj64ELj11ELj100EEvPKT0_PS4_S4_,comdat
.Lfunc_end64:
	.size	_Z6kernelI14inclusive_scanILN6hipcub18BlockScanAlgorithmE0EEfLj64ELj11ELj100EEvPKT0_PS4_S4_, .Lfunc_end64-_Z6kernelI14inclusive_scanILN6hipcub18BlockScanAlgorithmE0EEfLj64ELj11ELj100EEvPKT0_PS4_S4_
                                        ; -- End function
	.section	.AMDGPU.csdata,"",@progbits
; Kernel info:
; codeLenInByte = 928
; NumSgprs: 25
; NumVgprs: 42
; NumAgprs: 0
; TotalNumVgprs: 42
; ScratchSize: 0
; MemoryBound: 0
; FloatMode: 240
; IeeeMode: 1
; LDSByteSize: 4 bytes/workgroup (compile time only)
; SGPRBlocks: 3
; VGPRBlocks: 5
; NumSGPRsForWavesPerEU: 25
; NumVGPRsForWavesPerEU: 42
; AccumOffset: 44
; Occupancy: 8
; WaveLimiterHint : 0
; COMPUTE_PGM_RSRC2:SCRATCH_EN: 0
; COMPUTE_PGM_RSRC2:USER_SGPR: 2
; COMPUTE_PGM_RSRC2:TRAP_HANDLER: 0
; COMPUTE_PGM_RSRC2:TGID_X_EN: 1
; COMPUTE_PGM_RSRC2:TGID_Y_EN: 0
; COMPUTE_PGM_RSRC2:TGID_Z_EN: 0
; COMPUTE_PGM_RSRC2:TIDIG_COMP_CNT: 0
; COMPUTE_PGM_RSRC3_GFX90A:ACCUM_OFFSET: 10
; COMPUTE_PGM_RSRC3_GFX90A:TG_SPLIT: 0
	.section	.text._Z6kernelI14inclusive_scanILN6hipcub18BlockScanAlgorithmE0EEfLj64ELj16ELj100EEvPKT0_PS4_S4_,"axG",@progbits,_Z6kernelI14inclusive_scanILN6hipcub18BlockScanAlgorithmE0EEfLj64ELj16ELj100EEvPKT0_PS4_S4_,comdat
	.protected	_Z6kernelI14inclusive_scanILN6hipcub18BlockScanAlgorithmE0EEfLj64ELj16ELj100EEvPKT0_PS4_S4_ ; -- Begin function _Z6kernelI14inclusive_scanILN6hipcub18BlockScanAlgorithmE0EEfLj64ELj16ELj100EEvPKT0_PS4_S4_
	.globl	_Z6kernelI14inclusive_scanILN6hipcub18BlockScanAlgorithmE0EEfLj64ELj16ELj100EEvPKT0_PS4_S4_
	.p2align	8
	.type	_Z6kernelI14inclusive_scanILN6hipcub18BlockScanAlgorithmE0EEfLj64ELj16ELj100EEvPKT0_PS4_S4_,@function
_Z6kernelI14inclusive_scanILN6hipcub18BlockScanAlgorithmE0EEfLj64ELj16ELj100EEvPKT0_PS4_S4_: ; @_Z6kernelI14inclusive_scanILN6hipcub18BlockScanAlgorithmE0EEfLj64ELj16ELj100EEvPKT0_PS4_S4_
; %bb.0:
	s_load_dwordx4 s[12:15], s[0:1], 0x0
	s_load_dword s3, s[0:1], 0x24
	v_mov_b32_e32 v19, 0
	v_mbcnt_lo_u32_b32 v1, -1, 0
	v_mbcnt_hi_u32_b32 v1, -1, v1
	s_waitcnt lgkmcnt(0)
	v_mov_b32_e32 v2, s12
	s_and_b32 s0, s3, 0xffff
	s_mul_i32 s2, s2, s0
	v_mov_b32_e32 v3, s13
	v_add_lshl_u32 v18, s2, v0, 4
	v_lshl_add_u64 v[20:21], v[18:19], 2, v[2:3]
	global_load_dwordx4 v[2:5], v[20:21], off offset:48
	global_load_dwordx4 v[6:9], v[20:21], off offset:32
	global_load_dwordx4 v[14:17], v[20:21], off
	global_load_dwordx4 v[10:13], v[20:21], off offset:16
	v_and_b32_e32 v20, 15, v1
	v_cmp_eq_u32_e32 vcc, 0, v20
	v_cmp_lt_u32_e64 s[0:1], 1, v20
	v_cmp_lt_u32_e64 s[2:3], 3, v20
	v_cmp_lt_u32_e64 s[4:5], 7, v20
	v_and_b32_e32 v20, 16, v1
	v_cmp_eq_u32_e64 s[6:7], 0, v20
	v_add_u32_e32 v20, -1, v1
	v_and_b32_e32 v21, 64, v1
	v_cmp_lt_i32_e64 s[12:13], v20, v21
	v_cmp_lt_u32_e64 s[8:9], 31, v1
	v_cmp_eq_u32_e64 s[10:11], 63, v0
	v_cndmask_b32_e64 v1, v20, v1, s[12:13]
	v_lshlrev_b32_e32 v1, 2, v1
	v_cmp_eq_u32_e64 s[12:13], 0, v0
	s_movk_i32 s18, 0x64
	s_branch .LBB65_2
.LBB65_1:                               ;   in Loop: Header=BB65_2 Depth=1
	s_or_b64 exec, exec, s[16:17]
	ds_bpermute_b32 v0, v1, v0
	s_add_i32 s18, s18, -1
	s_cmp_lg_u32 s18, 0
	s_waitcnt lgkmcnt(0)
	; wave barrier
	s_waitcnt lgkmcnt(0)
	v_add_f32_e32 v0, v14, v0
	v_cndmask_b32_e64 v14, v0, v14, s[12:13]
	v_add_f32_e32 v15, v15, v14
	v_add_f32_e32 v16, v16, v15
	;; [unrolled: 1-line block ×15, first 2 shown]
	s_cbranch_scc0 .LBB65_4
.LBB65_2:                               ; =>This Inner Loop Header: Depth=1
	s_waitcnt vmcnt(1)
	v_add_f32_e32 v0, v15, v14
	v_add_f32_e32 v0, v16, v0
	;; [unrolled: 1-line block ×3, first 2 shown]
	s_waitcnt vmcnt(0)
	v_add_f32_e32 v0, v10, v0
	v_add_f32_e32 v0, v11, v0
	;; [unrolled: 1-line block ×12, first 2 shown]
	s_nop 1
	v_mov_b32_dpp v20, v0 row_shr:1 row_mask:0xf bank_mask:0xf
	v_add_f32_e32 v20, v0, v20
	v_cndmask_b32_e32 v0, v20, v0, vcc
	s_nop 1
	v_mov_b32_dpp v20, v0 row_shr:2 row_mask:0xf bank_mask:0xf
	v_add_f32_e32 v20, v0, v20
	v_cndmask_b32_e64 v0, v0, v20, s[0:1]
	s_nop 1
	v_mov_b32_dpp v20, v0 row_shr:4 row_mask:0xf bank_mask:0xf
	v_add_f32_e32 v20, v0, v20
	v_cndmask_b32_e64 v0, v0, v20, s[2:3]
	;; [unrolled: 4-line block ×3, first 2 shown]
	s_nop 1
	v_mov_b32_dpp v20, v0 row_bcast:15 row_mask:0xf bank_mask:0xf
	v_add_f32_e32 v20, v0, v20
	v_cndmask_b32_e64 v0, v20, v0, s[6:7]
	s_nop 1
	v_mov_b32_dpp v20, v0 row_bcast:31 row_mask:0xf bank_mask:0xf
	v_add_f32_e32 v20, v0, v20
	v_cndmask_b32_e64 v0, v0, v20, s[8:9]
	s_and_saveexec_b64 s[16:17], s[10:11]
	s_cbranch_execz .LBB65_1
; %bb.3:                                ;   in Loop: Header=BB65_2 Depth=1
	ds_write_b32 v19, v0
	s_branch .LBB65_1
.LBB65_4:
	v_mov_b32_e32 v0, s14
	v_mov_b32_e32 v1, s15
	v_lshl_add_u64 v[0:1], v[18:19], 2, v[0:1]
	global_store_dwordx4 v[0:1], v[14:17], off
	global_store_dwordx4 v[0:1], v[10:13], off offset:16
	global_store_dwordx4 v[0:1], v[6:9], off offset:32
	;; [unrolled: 1-line block ×3, first 2 shown]
	s_endpgm
	.section	.rodata,"a",@progbits
	.p2align	6, 0x0
	.amdhsa_kernel _Z6kernelI14inclusive_scanILN6hipcub18BlockScanAlgorithmE0EEfLj64ELj16ELj100EEvPKT0_PS4_S4_
		.amdhsa_group_segment_fixed_size 4
		.amdhsa_private_segment_fixed_size 0
		.amdhsa_kernarg_size 280
		.amdhsa_user_sgpr_count 2
		.amdhsa_user_sgpr_dispatch_ptr 0
		.amdhsa_user_sgpr_queue_ptr 0
		.amdhsa_user_sgpr_kernarg_segment_ptr 1
		.amdhsa_user_sgpr_dispatch_id 0
		.amdhsa_user_sgpr_kernarg_preload_length 0
		.amdhsa_user_sgpr_kernarg_preload_offset 0
		.amdhsa_user_sgpr_private_segment_size 0
		.amdhsa_uses_dynamic_stack 0
		.amdhsa_enable_private_segment 0
		.amdhsa_system_sgpr_workgroup_id_x 1
		.amdhsa_system_sgpr_workgroup_id_y 0
		.amdhsa_system_sgpr_workgroup_id_z 0
		.amdhsa_system_sgpr_workgroup_info 0
		.amdhsa_system_vgpr_workitem_id 0
		.amdhsa_next_free_vgpr 22
		.amdhsa_next_free_sgpr 19
		.amdhsa_accum_offset 24
		.amdhsa_reserve_vcc 1
		.amdhsa_float_round_mode_32 0
		.amdhsa_float_round_mode_16_64 0
		.amdhsa_float_denorm_mode_32 3
		.amdhsa_float_denorm_mode_16_64 3
		.amdhsa_dx10_clamp 1
		.amdhsa_ieee_mode 1
		.amdhsa_fp16_overflow 0
		.amdhsa_tg_split 0
		.amdhsa_exception_fp_ieee_invalid_op 0
		.amdhsa_exception_fp_denorm_src 0
		.amdhsa_exception_fp_ieee_div_zero 0
		.amdhsa_exception_fp_ieee_overflow 0
		.amdhsa_exception_fp_ieee_underflow 0
		.amdhsa_exception_fp_ieee_inexact 0
		.amdhsa_exception_int_div_zero 0
	.end_amdhsa_kernel
	.section	.text._Z6kernelI14inclusive_scanILN6hipcub18BlockScanAlgorithmE0EEfLj64ELj16ELj100EEvPKT0_PS4_S4_,"axG",@progbits,_Z6kernelI14inclusive_scanILN6hipcub18BlockScanAlgorithmE0EEfLj64ELj16ELj100EEvPKT0_PS4_S4_,comdat
.Lfunc_end65:
	.size	_Z6kernelI14inclusive_scanILN6hipcub18BlockScanAlgorithmE0EEfLj64ELj16ELj100EEvPKT0_PS4_S4_, .Lfunc_end65-_Z6kernelI14inclusive_scanILN6hipcub18BlockScanAlgorithmE0EEfLj64ELj16ELj100EEvPKT0_PS4_S4_
                                        ; -- End function
	.section	.AMDGPU.csdata,"",@progbits
; Kernel info:
; codeLenInByte = 596
; NumSgprs: 25
; NumVgprs: 22
; NumAgprs: 0
; TotalNumVgprs: 22
; ScratchSize: 0
; MemoryBound: 0
; FloatMode: 240
; IeeeMode: 1
; LDSByteSize: 4 bytes/workgroup (compile time only)
; SGPRBlocks: 3
; VGPRBlocks: 2
; NumSGPRsForWavesPerEU: 25
; NumVGPRsForWavesPerEU: 22
; AccumOffset: 24
; Occupancy: 8
; WaveLimiterHint : 0
; COMPUTE_PGM_RSRC2:SCRATCH_EN: 0
; COMPUTE_PGM_RSRC2:USER_SGPR: 2
; COMPUTE_PGM_RSRC2:TRAP_HANDLER: 0
; COMPUTE_PGM_RSRC2:TGID_X_EN: 1
; COMPUTE_PGM_RSRC2:TGID_Y_EN: 0
; COMPUTE_PGM_RSRC2:TGID_Z_EN: 0
; COMPUTE_PGM_RSRC2:TIDIG_COMP_CNT: 0
; COMPUTE_PGM_RSRC3_GFX90A:ACCUM_OFFSET: 5
; COMPUTE_PGM_RSRC3_GFX90A:TG_SPLIT: 0
	.section	.text._Z6kernelI14inclusive_scanILN6hipcub18BlockScanAlgorithmE0EEdLj64ELj1ELj100EEvPKT0_PS4_S4_,"axG",@progbits,_Z6kernelI14inclusive_scanILN6hipcub18BlockScanAlgorithmE0EEdLj64ELj1ELj100EEvPKT0_PS4_S4_,comdat
	.protected	_Z6kernelI14inclusive_scanILN6hipcub18BlockScanAlgorithmE0EEdLj64ELj1ELj100EEvPKT0_PS4_S4_ ; -- Begin function _Z6kernelI14inclusive_scanILN6hipcub18BlockScanAlgorithmE0EEdLj64ELj1ELj100EEvPKT0_PS4_S4_
	.globl	_Z6kernelI14inclusive_scanILN6hipcub18BlockScanAlgorithmE0EEdLj64ELj1ELj100EEvPKT0_PS4_S4_
	.p2align	8
	.type	_Z6kernelI14inclusive_scanILN6hipcub18BlockScanAlgorithmE0EEdLj64ELj1ELj100EEvPKT0_PS4_S4_,@function
_Z6kernelI14inclusive_scanILN6hipcub18BlockScanAlgorithmE0EEdLj64ELj1ELj100EEvPKT0_PS4_S4_: ; @_Z6kernelI14inclusive_scanILN6hipcub18BlockScanAlgorithmE0EEdLj64ELj1ELj100EEvPKT0_PS4_S4_
; %bb.0:
	s_load_dwordx4 s[12:15], s[0:1], 0x0
	s_load_dword s3, s[0:1], 0x24
	v_mov_b32_e32 v3, 0
	v_mbcnt_lo_u32_b32 v1, -1, 0
	v_mbcnt_hi_u32_b32 v1, -1, v1
	s_waitcnt lgkmcnt(0)
	v_mov_b32_e32 v4, s12
	s_and_b32 s0, s3, 0xffff
	s_mul_i32 s2, s2, s0
	v_mov_b32_e32 v5, s13
	v_add_u32_e32 v2, s2, v0
	v_lshl_add_u64 v[4:5], v[2:3], 3, v[4:5]
	global_load_dwordx2 v[4:5], v[4:5], off
	v_and_b32_e32 v6, 15, v1
	v_cmp_eq_u32_e32 vcc, 0, v6
	v_cmp_lt_u32_e64 s[0:1], 1, v6
	v_cmp_lt_u32_e64 s[2:3], 3, v6
	;; [unrolled: 1-line block ×3, first 2 shown]
	v_and_b32_e32 v6, 16, v1
	v_cmp_eq_u32_e64 s[6:7], 0, v6
	v_cmp_eq_u32_e64 s[8:9], 0, v1
	;; [unrolled: 1-line block ×3, first 2 shown]
	v_cmp_lt_u32_e64 s[12:13], 31, v1
	s_movk_i32 s18, 0x64
	s_branch .LBB66_2
.LBB66_1:                               ;   in Loop: Header=BB66_2 Depth=1
	s_or_b64 exec, exec, s[16:17]
	s_add_i32 s18, s18, -1
	s_cmp_lg_u32 s18, 0
	s_waitcnt lgkmcnt(0)
	; wave barrier
	s_waitcnt lgkmcnt(0)
	s_cbranch_scc0 .LBB66_4
.LBB66_2:                               ; =>This Inner Loop Header: Depth=1
	s_waitcnt vmcnt(0)
	v_mov_b32_dpp v0, v4 row_shr:1 row_mask:0xf bank_mask:0xf
	v_mov_b32_dpp v1, v5 row_shr:1 row_mask:0xf bank_mask:0xf
	v_add_f64 v[0:1], v[4:5], v[0:1]
	v_cndmask_b32_e32 v0, v0, v4, vcc
	v_cndmask_b32_e32 v1, v1, v5, vcc
	s_nop 0
	v_mov_b32_dpp v6, v0 row_shr:2 row_mask:0xf bank_mask:0xf
	v_mov_b32_dpp v7, v1 row_shr:2 row_mask:0xf bank_mask:0xf
	v_add_f64 v[6:7], v[0:1], v[6:7]
	v_cndmask_b32_e64 v0, v0, v6, s[0:1]
	v_cndmask_b32_e64 v1, v1, v7, s[0:1]
	s_nop 0
	v_mov_b32_dpp v6, v0 row_shr:4 row_mask:0xf bank_mask:0xf
	v_mov_b32_dpp v7, v1 row_shr:4 row_mask:0xf bank_mask:0xf
	v_add_f64 v[6:7], v[0:1], v[6:7]
	v_cndmask_b32_e64 v0, v0, v6, s[2:3]
	v_cndmask_b32_e64 v1, v1, v7, s[2:3]
	;; [unrolled: 6-line block ×3, first 2 shown]
	s_nop 0
	v_mov_b32_dpp v6, v0 row_bcast:15 row_mask:0xf bank_mask:0xf
	v_mov_b32_dpp v7, v1 row_bcast:15 row_mask:0xf bank_mask:0xf
	v_add_f64 v[6:7], v[0:1], v[6:7]
	v_cndmask_b32_e64 v0, v6, v0, s[6:7]
	v_cndmask_b32_e64 v1, v7, v1, s[6:7]
	s_nop 0
	v_mov_b32_dpp v6, v0 row_bcast:31 row_mask:0xf bank_mask:0xf
	v_mov_b32_dpp v7, v1 row_bcast:31 row_mask:0xf bank_mask:0xf
	v_add_f64 v[6:7], v[0:1], v[6:7]
	v_cndmask_b32_e64 v0, v0, v6, s[12:13]
	v_cndmask_b32_e64 v1, v1, v7, s[12:13]
	;; [unrolled: 1-line block ×4, first 2 shown]
	s_and_saveexec_b64 s[16:17], s[10:11]
	s_cbranch_execz .LBB66_1
; %bb.3:                                ;   in Loop: Header=BB66_2 Depth=1
	ds_write_b64 v3, v[4:5]
	s_branch .LBB66_1
.LBB66_4:
	v_mov_b32_e32 v0, s14
	v_mov_b32_e32 v1, s15
	v_lshl_add_u64 v[0:1], v[2:3], 3, v[0:1]
	global_store_dwordx2 v[0:1], v[4:5], off
	s_endpgm
	.section	.rodata,"a",@progbits
	.p2align	6, 0x0
	.amdhsa_kernel _Z6kernelI14inclusive_scanILN6hipcub18BlockScanAlgorithmE0EEdLj64ELj1ELj100EEvPKT0_PS4_S4_
		.amdhsa_group_segment_fixed_size 8
		.amdhsa_private_segment_fixed_size 0
		.amdhsa_kernarg_size 280
		.amdhsa_user_sgpr_count 2
		.amdhsa_user_sgpr_dispatch_ptr 0
		.amdhsa_user_sgpr_queue_ptr 0
		.amdhsa_user_sgpr_kernarg_segment_ptr 1
		.amdhsa_user_sgpr_dispatch_id 0
		.amdhsa_user_sgpr_kernarg_preload_length 0
		.amdhsa_user_sgpr_kernarg_preload_offset 0
		.amdhsa_user_sgpr_private_segment_size 0
		.amdhsa_uses_dynamic_stack 0
		.amdhsa_enable_private_segment 0
		.amdhsa_system_sgpr_workgroup_id_x 1
		.amdhsa_system_sgpr_workgroup_id_y 0
		.amdhsa_system_sgpr_workgroup_id_z 0
		.amdhsa_system_sgpr_workgroup_info 0
		.amdhsa_system_vgpr_workitem_id 0
		.amdhsa_next_free_vgpr 8
		.amdhsa_next_free_sgpr 19
		.amdhsa_accum_offset 8
		.amdhsa_reserve_vcc 1
		.amdhsa_float_round_mode_32 0
		.amdhsa_float_round_mode_16_64 0
		.amdhsa_float_denorm_mode_32 3
		.amdhsa_float_denorm_mode_16_64 3
		.amdhsa_dx10_clamp 1
		.amdhsa_ieee_mode 1
		.amdhsa_fp16_overflow 0
		.amdhsa_tg_split 0
		.amdhsa_exception_fp_ieee_invalid_op 0
		.amdhsa_exception_fp_denorm_src 0
		.amdhsa_exception_fp_ieee_div_zero 0
		.amdhsa_exception_fp_ieee_overflow 0
		.amdhsa_exception_fp_ieee_underflow 0
		.amdhsa_exception_fp_ieee_inexact 0
		.amdhsa_exception_int_div_zero 0
	.end_amdhsa_kernel
	.section	.text._Z6kernelI14inclusive_scanILN6hipcub18BlockScanAlgorithmE0EEdLj64ELj1ELj100EEvPKT0_PS4_S4_,"axG",@progbits,_Z6kernelI14inclusive_scanILN6hipcub18BlockScanAlgorithmE0EEdLj64ELj1ELj100EEvPKT0_PS4_S4_,comdat
.Lfunc_end66:
	.size	_Z6kernelI14inclusive_scanILN6hipcub18BlockScanAlgorithmE0EEdLj64ELj1ELj100EEvPKT0_PS4_S4_, .Lfunc_end66-_Z6kernelI14inclusive_scanILN6hipcub18BlockScanAlgorithmE0EEdLj64ELj1ELj100EEvPKT0_PS4_S4_
                                        ; -- End function
	.section	.AMDGPU.csdata,"",@progbits
; Kernel info:
; codeLenInByte = 500
; NumSgprs: 25
; NumVgprs: 8
; NumAgprs: 0
; TotalNumVgprs: 8
; ScratchSize: 0
; MemoryBound: 0
; FloatMode: 240
; IeeeMode: 1
; LDSByteSize: 8 bytes/workgroup (compile time only)
; SGPRBlocks: 3
; VGPRBlocks: 0
; NumSGPRsForWavesPerEU: 25
; NumVGPRsForWavesPerEU: 8
; AccumOffset: 8
; Occupancy: 8
; WaveLimiterHint : 0
; COMPUTE_PGM_RSRC2:SCRATCH_EN: 0
; COMPUTE_PGM_RSRC2:USER_SGPR: 2
; COMPUTE_PGM_RSRC2:TRAP_HANDLER: 0
; COMPUTE_PGM_RSRC2:TGID_X_EN: 1
; COMPUTE_PGM_RSRC2:TGID_Y_EN: 0
; COMPUTE_PGM_RSRC2:TGID_Z_EN: 0
; COMPUTE_PGM_RSRC2:TIDIG_COMP_CNT: 0
; COMPUTE_PGM_RSRC3_GFX90A:ACCUM_OFFSET: 1
; COMPUTE_PGM_RSRC3_GFX90A:TG_SPLIT: 0
	.section	.text._Z6kernelI14inclusive_scanILN6hipcub18BlockScanAlgorithmE0EEdLj64ELj3ELj100EEvPKT0_PS4_S4_,"axG",@progbits,_Z6kernelI14inclusive_scanILN6hipcub18BlockScanAlgorithmE0EEdLj64ELj3ELj100EEvPKT0_PS4_S4_,comdat
	.protected	_Z6kernelI14inclusive_scanILN6hipcub18BlockScanAlgorithmE0EEdLj64ELj3ELj100EEvPKT0_PS4_S4_ ; -- Begin function _Z6kernelI14inclusive_scanILN6hipcub18BlockScanAlgorithmE0EEdLj64ELj3ELj100EEvPKT0_PS4_S4_
	.globl	_Z6kernelI14inclusive_scanILN6hipcub18BlockScanAlgorithmE0EEdLj64ELj3ELj100EEvPKT0_PS4_S4_
	.p2align	8
	.type	_Z6kernelI14inclusive_scanILN6hipcub18BlockScanAlgorithmE0EEdLj64ELj3ELj100EEvPKT0_PS4_S4_,@function
_Z6kernelI14inclusive_scanILN6hipcub18BlockScanAlgorithmE0EEdLj64ELj3ELj100EEvPKT0_PS4_S4_: ; @_Z6kernelI14inclusive_scanILN6hipcub18BlockScanAlgorithmE0EEdLj64ELj3ELj100EEvPKT0_PS4_S4_
; %bb.0:
	s_load_dword s3, s[0:1], 0x24
	s_load_dwordx4 s[16:19], s[0:1], 0x0
	v_mov_b32_e32 v3, 0
	v_mov_b32_e32 v5, v3
	v_mov_b32_e32 v7, v3
	s_waitcnt lgkmcnt(0)
	s_and_b32 s0, s3, 0xffff
	s_mul_i32 s2, s2, s0
	v_add_u32_e32 v1, s2, v0
	v_lshl_add_u32 v2, v1, 1, v1
	v_lshl_add_u64 v[14:15], v[2:3], 3, s[16:17]
	v_add_u32_e32 v4, 1, v2
	v_add_u32_e32 v6, 2, v2
	v_lshl_add_u64 v[16:17], v[4:5], 3, s[16:17]
	v_lshl_add_u64 v[18:19], v[6:7], 3, s[16:17]
	global_load_dwordx2 v[12:13], v[14:15], off
	global_load_dwordx2 v[10:11], v[16:17], off
	;; [unrolled: 1-line block ×3, first 2 shown]
	v_mbcnt_lo_u32_b32 v1, -1, 0
	v_mbcnt_hi_u32_b32 v1, -1, v1
	v_and_b32_e32 v14, 15, v1
	v_cmp_eq_u32_e32 vcc, 0, v14
	v_cmp_lt_u32_e64 s[0:1], 1, v14
	v_cmp_lt_u32_e64 s[2:3], 3, v14
	;; [unrolled: 1-line block ×3, first 2 shown]
	v_and_b32_e32 v14, 16, v1
	v_cmp_eq_u32_e64 s[6:7], 0, v14
	v_add_u32_e32 v14, -1, v1
	v_and_b32_e32 v15, 64, v1
	v_cmp_lt_i32_e64 s[12:13], v14, v15
	v_cmp_eq_u32_e64 s[8:9], 0, v1
	v_cmp_eq_u32_e64 s[10:11], 63, v0
	v_cndmask_b32_e64 v14, v14, v1, s[12:13]
	v_lshlrev_b32_e32 v14, 2, v14
	v_cmp_eq_u32_e64 s[12:13], 0, v0
	v_cmp_lt_u32_e64 s[14:15], 31, v1
	s_movk_i32 s20, 0x64
	s_branch .LBB67_2
.LBB67_1:                               ;   in Loop: Header=BB67_2 Depth=1
	s_or_b64 exec, exec, s[16:17]
	ds_bpermute_b32 v0, v14, v0
	ds_bpermute_b32 v1, v14, v1
	s_add_i32 s20, s20, -1
	s_cmp_lg_u32 s20, 0
	s_waitcnt lgkmcnt(0)
	; wave barrier
	s_waitcnt lgkmcnt(0)
	v_add_f64 v[0:1], v[12:13], v[0:1]
	v_cndmask_b32_e64 v13, v1, v13, s[12:13]
	v_cndmask_b32_e64 v12, v0, v12, s[12:13]
	v_add_f64 v[10:11], v[10:11], v[12:13]
	v_add_f64 v[8:9], v[8:9], v[10:11]
	s_cbranch_scc0 .LBB67_4
.LBB67_2:                               ; =>This Inner Loop Header: Depth=1
	s_waitcnt vmcnt(1)
	v_add_f64 v[0:1], v[12:13], v[10:11]
	s_waitcnt vmcnt(0)
	v_add_f64 v[0:1], v[8:9], v[0:1]
	s_nop 1
	v_mov_b32_dpp v16, v0 row_shr:1 row_mask:0xf bank_mask:0xf
	v_mov_b32_dpp v17, v1 row_shr:1 row_mask:0xf bank_mask:0xf
	v_add_f64 v[16:17], v[0:1], v[16:17]
	v_cndmask_b32_e32 v16, v16, v0, vcc
	v_cndmask_b32_e32 v17, v17, v1, vcc
	s_nop 0
	v_mov_b32_dpp v18, v16 row_shr:2 row_mask:0xf bank_mask:0xf
	v_mov_b32_dpp v19, v17 row_shr:2 row_mask:0xf bank_mask:0xf
	v_add_f64 v[18:19], v[16:17], v[18:19]
	v_cndmask_b32_e64 v16, v16, v18, s[0:1]
	v_cndmask_b32_e64 v17, v17, v19, s[0:1]
	s_nop 0
	v_mov_b32_dpp v18, v16 row_shr:4 row_mask:0xf bank_mask:0xf
	v_mov_b32_dpp v19, v17 row_shr:4 row_mask:0xf bank_mask:0xf
	v_add_f64 v[18:19], v[16:17], v[18:19]
	v_cndmask_b32_e64 v16, v16, v18, s[2:3]
	v_cndmask_b32_e64 v17, v17, v19, s[2:3]
	;; [unrolled: 6-line block ×3, first 2 shown]
	s_nop 0
	v_mov_b32_dpp v18, v16 row_bcast:15 row_mask:0xf bank_mask:0xf
	v_mov_b32_dpp v19, v17 row_bcast:15 row_mask:0xf bank_mask:0xf
	v_add_f64 v[18:19], v[16:17], v[18:19]
	v_cndmask_b32_e64 v16, v18, v16, s[6:7]
	v_cndmask_b32_e64 v17, v19, v17, s[6:7]
	s_nop 0
	v_mov_b32_dpp v18, v16 row_bcast:31 row_mask:0xf bank_mask:0xf
	v_mov_b32_dpp v19, v17 row_bcast:31 row_mask:0xf bank_mask:0xf
	v_add_f64 v[18:19], v[16:17], v[18:19]
	v_cndmask_b32_e64 v15, v16, v18, s[14:15]
	v_cndmask_b32_e64 v16, v17, v19, s[14:15]
	;; [unrolled: 1-line block ×4, first 2 shown]
	s_and_saveexec_b64 s[16:17], s[10:11]
	s_cbranch_execz .LBB67_1
; %bb.3:                                ;   in Loop: Header=BB67_2 Depth=1
	ds_write_b64 v3, v[0:1]
	s_branch .LBB67_1
.LBB67_4:
	v_lshl_add_u64 v[0:1], v[2:3], 3, s[18:19]
	global_store_dwordx2 v[0:1], v[12:13], off
	v_lshl_add_u64 v[0:1], v[4:5], 3, s[18:19]
	global_store_dwordx2 v[0:1], v[10:11], off
	;; [unrolled: 2-line block ×3, first 2 shown]
	s_endpgm
	.section	.rodata,"a",@progbits
	.p2align	6, 0x0
	.amdhsa_kernel _Z6kernelI14inclusive_scanILN6hipcub18BlockScanAlgorithmE0EEdLj64ELj3ELj100EEvPKT0_PS4_S4_
		.amdhsa_group_segment_fixed_size 8
		.amdhsa_private_segment_fixed_size 0
		.amdhsa_kernarg_size 280
		.amdhsa_user_sgpr_count 2
		.amdhsa_user_sgpr_dispatch_ptr 0
		.amdhsa_user_sgpr_queue_ptr 0
		.amdhsa_user_sgpr_kernarg_segment_ptr 1
		.amdhsa_user_sgpr_dispatch_id 0
		.amdhsa_user_sgpr_kernarg_preload_length 0
		.amdhsa_user_sgpr_kernarg_preload_offset 0
		.amdhsa_user_sgpr_private_segment_size 0
		.amdhsa_uses_dynamic_stack 0
		.amdhsa_enable_private_segment 0
		.amdhsa_system_sgpr_workgroup_id_x 1
		.amdhsa_system_sgpr_workgroup_id_y 0
		.amdhsa_system_sgpr_workgroup_id_z 0
		.amdhsa_system_sgpr_workgroup_info 0
		.amdhsa_system_vgpr_workitem_id 0
		.amdhsa_next_free_vgpr 20
		.amdhsa_next_free_sgpr 21
		.amdhsa_accum_offset 20
		.amdhsa_reserve_vcc 1
		.amdhsa_float_round_mode_32 0
		.amdhsa_float_round_mode_16_64 0
		.amdhsa_float_denorm_mode_32 3
		.amdhsa_float_denorm_mode_16_64 3
		.amdhsa_dx10_clamp 1
		.amdhsa_ieee_mode 1
		.amdhsa_fp16_overflow 0
		.amdhsa_tg_split 0
		.amdhsa_exception_fp_ieee_invalid_op 0
		.amdhsa_exception_fp_denorm_src 0
		.amdhsa_exception_fp_ieee_div_zero 0
		.amdhsa_exception_fp_ieee_overflow 0
		.amdhsa_exception_fp_ieee_underflow 0
		.amdhsa_exception_fp_ieee_inexact 0
		.amdhsa_exception_int_div_zero 0
	.end_amdhsa_kernel
	.section	.text._Z6kernelI14inclusive_scanILN6hipcub18BlockScanAlgorithmE0EEdLj64ELj3ELj100EEvPKT0_PS4_S4_,"axG",@progbits,_Z6kernelI14inclusive_scanILN6hipcub18BlockScanAlgorithmE0EEdLj64ELj3ELj100EEvPKT0_PS4_S4_,comdat
.Lfunc_end67:
	.size	_Z6kernelI14inclusive_scanILN6hipcub18BlockScanAlgorithmE0EEdLj64ELj3ELj100EEvPKT0_PS4_S4_, .Lfunc_end67-_Z6kernelI14inclusive_scanILN6hipcub18BlockScanAlgorithmE0EEdLj64ELj3ELj100EEvPKT0_PS4_S4_
                                        ; -- End function
	.section	.AMDGPU.csdata,"",@progbits
; Kernel info:
; codeLenInByte = 688
; NumSgprs: 27
; NumVgprs: 20
; NumAgprs: 0
; TotalNumVgprs: 20
; ScratchSize: 0
; MemoryBound: 0
; FloatMode: 240
; IeeeMode: 1
; LDSByteSize: 8 bytes/workgroup (compile time only)
; SGPRBlocks: 3
; VGPRBlocks: 2
; NumSGPRsForWavesPerEU: 27
; NumVGPRsForWavesPerEU: 20
; AccumOffset: 20
; Occupancy: 8
; WaveLimiterHint : 0
; COMPUTE_PGM_RSRC2:SCRATCH_EN: 0
; COMPUTE_PGM_RSRC2:USER_SGPR: 2
; COMPUTE_PGM_RSRC2:TRAP_HANDLER: 0
; COMPUTE_PGM_RSRC2:TGID_X_EN: 1
; COMPUTE_PGM_RSRC2:TGID_Y_EN: 0
; COMPUTE_PGM_RSRC2:TGID_Z_EN: 0
; COMPUTE_PGM_RSRC2:TIDIG_COMP_CNT: 0
; COMPUTE_PGM_RSRC3_GFX90A:ACCUM_OFFSET: 4
; COMPUTE_PGM_RSRC3_GFX90A:TG_SPLIT: 0
	.section	.text._Z6kernelI14inclusive_scanILN6hipcub18BlockScanAlgorithmE0EEdLj64ELj4ELj100EEvPKT0_PS4_S4_,"axG",@progbits,_Z6kernelI14inclusive_scanILN6hipcub18BlockScanAlgorithmE0EEdLj64ELj4ELj100EEvPKT0_PS4_S4_,comdat
	.protected	_Z6kernelI14inclusive_scanILN6hipcub18BlockScanAlgorithmE0EEdLj64ELj4ELj100EEvPKT0_PS4_S4_ ; -- Begin function _Z6kernelI14inclusive_scanILN6hipcub18BlockScanAlgorithmE0EEdLj64ELj4ELj100EEvPKT0_PS4_S4_
	.globl	_Z6kernelI14inclusive_scanILN6hipcub18BlockScanAlgorithmE0EEdLj64ELj4ELj100EEvPKT0_PS4_S4_
	.p2align	8
	.type	_Z6kernelI14inclusive_scanILN6hipcub18BlockScanAlgorithmE0EEdLj64ELj4ELj100EEvPKT0_PS4_S4_,@function
_Z6kernelI14inclusive_scanILN6hipcub18BlockScanAlgorithmE0EEdLj64ELj4ELj100EEvPKT0_PS4_S4_: ; @_Z6kernelI14inclusive_scanILN6hipcub18BlockScanAlgorithmE0EEdLj64ELj4ELj100EEvPKT0_PS4_S4_
; %bb.0:
	s_load_dwordx4 s[16:19], s[0:1], 0x0
	s_load_dword s3, s[0:1], 0x24
	v_mov_b32_e32 v11, 0
	v_mbcnt_lo_u32_b32 v1, -1, 0
	v_mbcnt_hi_u32_b32 v1, -1, v1
	s_waitcnt lgkmcnt(0)
	v_mov_b32_e32 v2, s16
	s_and_b32 s0, s3, 0xffff
	s_mul_i32 s2, s2, s0
	v_mov_b32_e32 v3, s17
	v_add_lshl_u32 v10, s2, v0, 2
	v_lshl_add_u64 v[12:13], v[10:11], 3, v[2:3]
	global_load_dwordx4 v[2:5], v[12:13], off offset:16
	global_load_dwordx4 v[6:9], v[12:13], off
	v_and_b32_e32 v12, 15, v1
	v_cmp_eq_u32_e32 vcc, 0, v12
	v_cmp_lt_u32_e64 s[0:1], 1, v12
	v_cmp_lt_u32_e64 s[2:3], 3, v12
	;; [unrolled: 1-line block ×3, first 2 shown]
	v_and_b32_e32 v12, 16, v1
	v_cmp_eq_u32_e64 s[6:7], 0, v12
	v_add_u32_e32 v12, -1, v1
	v_and_b32_e32 v13, 64, v1
	v_cmp_lt_i32_e64 s[12:13], v12, v13
	v_cmp_eq_u32_e64 s[8:9], 0, v1
	v_cmp_eq_u32_e64 s[10:11], 63, v0
	v_cndmask_b32_e64 v12, v12, v1, s[12:13]
	v_lshlrev_b32_e32 v12, 2, v12
	v_cmp_eq_u32_e64 s[12:13], 0, v0
	v_cmp_lt_u32_e64 s[14:15], 31, v1
	s_movk_i32 s20, 0x64
	s_branch .LBB68_2
.LBB68_1:                               ;   in Loop: Header=BB68_2 Depth=1
	s_or_b64 exec, exec, s[16:17]
	ds_bpermute_b32 v0, v12, v0
	ds_bpermute_b32 v1, v12, v1
	s_add_i32 s20, s20, -1
	s_cmp_lg_u32 s20, 0
	s_waitcnt lgkmcnt(0)
	; wave barrier
	s_waitcnt lgkmcnt(0)
	v_add_f64 v[0:1], v[6:7], v[0:1]
	v_cndmask_b32_e64 v7, v1, v7, s[12:13]
	v_cndmask_b32_e64 v6, v0, v6, s[12:13]
	v_add_f64 v[8:9], v[8:9], v[6:7]
	v_add_f64 v[2:3], v[2:3], v[8:9]
	;; [unrolled: 1-line block ×3, first 2 shown]
	s_cbranch_scc0 .LBB68_4
.LBB68_2:                               ; =>This Inner Loop Header: Depth=1
	s_waitcnt vmcnt(0)
	v_add_f64 v[0:1], v[6:7], v[8:9]
	v_add_f64 v[0:1], v[2:3], v[0:1]
	v_add_f64 v[0:1], v[4:5], v[0:1]
	s_nop 1
	v_mov_b32_dpp v14, v0 row_shr:1 row_mask:0xf bank_mask:0xf
	v_mov_b32_dpp v15, v1 row_shr:1 row_mask:0xf bank_mask:0xf
	v_add_f64 v[14:15], v[0:1], v[14:15]
	v_cndmask_b32_e32 v14, v14, v0, vcc
	v_cndmask_b32_e32 v15, v15, v1, vcc
	s_nop 0
	v_mov_b32_dpp v16, v14 row_shr:2 row_mask:0xf bank_mask:0xf
	v_mov_b32_dpp v17, v15 row_shr:2 row_mask:0xf bank_mask:0xf
	v_add_f64 v[16:17], v[14:15], v[16:17]
	v_cndmask_b32_e64 v14, v14, v16, s[0:1]
	v_cndmask_b32_e64 v15, v15, v17, s[0:1]
	s_nop 0
	v_mov_b32_dpp v16, v14 row_shr:4 row_mask:0xf bank_mask:0xf
	v_mov_b32_dpp v17, v15 row_shr:4 row_mask:0xf bank_mask:0xf
	v_add_f64 v[16:17], v[14:15], v[16:17]
	v_cndmask_b32_e64 v14, v14, v16, s[2:3]
	v_cndmask_b32_e64 v15, v15, v17, s[2:3]
	;; [unrolled: 6-line block ×3, first 2 shown]
	s_nop 0
	v_mov_b32_dpp v16, v14 row_bcast:15 row_mask:0xf bank_mask:0xf
	v_mov_b32_dpp v17, v15 row_bcast:15 row_mask:0xf bank_mask:0xf
	v_add_f64 v[16:17], v[14:15], v[16:17]
	v_cndmask_b32_e64 v14, v16, v14, s[6:7]
	v_cndmask_b32_e64 v15, v17, v15, s[6:7]
	s_nop 0
	v_mov_b32_dpp v16, v14 row_bcast:31 row_mask:0xf bank_mask:0xf
	v_mov_b32_dpp v17, v15 row_bcast:31 row_mask:0xf bank_mask:0xf
	v_add_f64 v[16:17], v[14:15], v[16:17]
	v_cndmask_b32_e64 v13, v14, v16, s[14:15]
	v_cndmask_b32_e64 v14, v15, v17, s[14:15]
	;; [unrolled: 1-line block ×4, first 2 shown]
	s_and_saveexec_b64 s[16:17], s[10:11]
	s_cbranch_execz .LBB68_1
; %bb.3:                                ;   in Loop: Header=BB68_2 Depth=1
	ds_write_b64 v11, v[0:1]
	s_branch .LBB68_1
.LBB68_4:
	v_mov_b32_e32 v0, s18
	v_mov_b32_e32 v1, s19
	v_lshl_add_u64 v[0:1], v[10:11], 3, v[0:1]
	global_store_dwordx4 v[0:1], v[6:9], off
	global_store_dwordx4 v[0:1], v[2:5], off offset:16
	s_endpgm
	.section	.rodata,"a",@progbits
	.p2align	6, 0x0
	.amdhsa_kernel _Z6kernelI14inclusive_scanILN6hipcub18BlockScanAlgorithmE0EEdLj64ELj4ELj100EEvPKT0_PS4_S4_
		.amdhsa_group_segment_fixed_size 8
		.amdhsa_private_segment_fixed_size 0
		.amdhsa_kernarg_size 280
		.amdhsa_user_sgpr_count 2
		.amdhsa_user_sgpr_dispatch_ptr 0
		.amdhsa_user_sgpr_queue_ptr 0
		.amdhsa_user_sgpr_kernarg_segment_ptr 1
		.amdhsa_user_sgpr_dispatch_id 0
		.amdhsa_user_sgpr_kernarg_preload_length 0
		.amdhsa_user_sgpr_kernarg_preload_offset 0
		.amdhsa_user_sgpr_private_segment_size 0
		.amdhsa_uses_dynamic_stack 0
		.amdhsa_enable_private_segment 0
		.amdhsa_system_sgpr_workgroup_id_x 1
		.amdhsa_system_sgpr_workgroup_id_y 0
		.amdhsa_system_sgpr_workgroup_id_z 0
		.amdhsa_system_sgpr_workgroup_info 0
		.amdhsa_system_vgpr_workitem_id 0
		.amdhsa_next_free_vgpr 18
		.amdhsa_next_free_sgpr 21
		.amdhsa_accum_offset 20
		.amdhsa_reserve_vcc 1
		.amdhsa_float_round_mode_32 0
		.amdhsa_float_round_mode_16_64 0
		.amdhsa_float_denorm_mode_32 3
		.amdhsa_float_denorm_mode_16_64 3
		.amdhsa_dx10_clamp 1
		.amdhsa_ieee_mode 1
		.amdhsa_fp16_overflow 0
		.amdhsa_tg_split 0
		.amdhsa_exception_fp_ieee_invalid_op 0
		.amdhsa_exception_fp_denorm_src 0
		.amdhsa_exception_fp_ieee_div_zero 0
		.amdhsa_exception_fp_ieee_overflow 0
		.amdhsa_exception_fp_ieee_underflow 0
		.amdhsa_exception_fp_ieee_inexact 0
		.amdhsa_exception_int_div_zero 0
	.end_amdhsa_kernel
	.section	.text._Z6kernelI14inclusive_scanILN6hipcub18BlockScanAlgorithmE0EEdLj64ELj4ELj100EEvPKT0_PS4_S4_,"axG",@progbits,_Z6kernelI14inclusive_scanILN6hipcub18BlockScanAlgorithmE0EEdLj64ELj4ELj100EEvPKT0_PS4_S4_,comdat
.Lfunc_end68:
	.size	_Z6kernelI14inclusive_scanILN6hipcub18BlockScanAlgorithmE0EEdLj64ELj4ELj100EEvPKT0_PS4_S4_, .Lfunc_end68-_Z6kernelI14inclusive_scanILN6hipcub18BlockScanAlgorithmE0EEdLj64ELj4ELj100EEvPKT0_PS4_S4_
                                        ; -- End function
	.section	.AMDGPU.csdata,"",@progbits
; Kernel info:
; codeLenInByte = 648
; NumSgprs: 27
; NumVgprs: 18
; NumAgprs: 0
; TotalNumVgprs: 18
; ScratchSize: 0
; MemoryBound: 0
; FloatMode: 240
; IeeeMode: 1
; LDSByteSize: 8 bytes/workgroup (compile time only)
; SGPRBlocks: 3
; VGPRBlocks: 2
; NumSGPRsForWavesPerEU: 27
; NumVGPRsForWavesPerEU: 18
; AccumOffset: 20
; Occupancy: 8
; WaveLimiterHint : 0
; COMPUTE_PGM_RSRC2:SCRATCH_EN: 0
; COMPUTE_PGM_RSRC2:USER_SGPR: 2
; COMPUTE_PGM_RSRC2:TRAP_HANDLER: 0
; COMPUTE_PGM_RSRC2:TGID_X_EN: 1
; COMPUTE_PGM_RSRC2:TGID_Y_EN: 0
; COMPUTE_PGM_RSRC2:TGID_Z_EN: 0
; COMPUTE_PGM_RSRC2:TIDIG_COMP_CNT: 0
; COMPUTE_PGM_RSRC3_GFX90A:ACCUM_OFFSET: 4
; COMPUTE_PGM_RSRC3_GFX90A:TG_SPLIT: 0
	.section	.text._Z6kernelI14inclusive_scanILN6hipcub18BlockScanAlgorithmE0EEdLj64ELj8ELj100EEvPKT0_PS4_S4_,"axG",@progbits,_Z6kernelI14inclusive_scanILN6hipcub18BlockScanAlgorithmE0EEdLj64ELj8ELj100EEvPKT0_PS4_S4_,comdat
	.protected	_Z6kernelI14inclusive_scanILN6hipcub18BlockScanAlgorithmE0EEdLj64ELj8ELj100EEvPKT0_PS4_S4_ ; -- Begin function _Z6kernelI14inclusive_scanILN6hipcub18BlockScanAlgorithmE0EEdLj64ELj8ELj100EEvPKT0_PS4_S4_
	.globl	_Z6kernelI14inclusive_scanILN6hipcub18BlockScanAlgorithmE0EEdLj64ELj8ELj100EEvPKT0_PS4_S4_
	.p2align	8
	.type	_Z6kernelI14inclusive_scanILN6hipcub18BlockScanAlgorithmE0EEdLj64ELj8ELj100EEvPKT0_PS4_S4_,@function
_Z6kernelI14inclusive_scanILN6hipcub18BlockScanAlgorithmE0EEdLj64ELj8ELj100EEvPKT0_PS4_S4_: ; @_Z6kernelI14inclusive_scanILN6hipcub18BlockScanAlgorithmE0EEdLj64ELj8ELj100EEvPKT0_PS4_S4_
; %bb.0:
	s_load_dwordx4 s[16:19], s[0:1], 0x0
	s_load_dword s3, s[0:1], 0x24
	v_mov_b32_e32 v19, 0
	v_mbcnt_lo_u32_b32 v1, -1, 0
	v_mbcnt_hi_u32_b32 v1, -1, v1
	s_waitcnt lgkmcnt(0)
	v_mov_b32_e32 v2, s16
	s_and_b32 s0, s3, 0xffff
	s_mul_i32 s2, s2, s0
	v_mov_b32_e32 v3, s17
	v_add_lshl_u32 v18, s2, v0, 3
	v_lshl_add_u64 v[20:21], v[18:19], 3, v[2:3]
	global_load_dwordx4 v[2:5], v[20:21], off offset:48
	global_load_dwordx4 v[6:9], v[20:21], off offset:32
	;; [unrolled: 1-line block ×3, first 2 shown]
	global_load_dwordx4 v[14:17], v[20:21], off
	v_and_b32_e32 v20, 15, v1
	v_cmp_eq_u32_e32 vcc, 0, v20
	v_cmp_lt_u32_e64 s[0:1], 1, v20
	v_cmp_lt_u32_e64 s[2:3], 3, v20
	;; [unrolled: 1-line block ×3, first 2 shown]
	v_and_b32_e32 v20, 16, v1
	v_cmp_eq_u32_e64 s[6:7], 0, v20
	v_add_u32_e32 v20, -1, v1
	v_and_b32_e32 v21, 64, v1
	v_cmp_lt_i32_e64 s[12:13], v20, v21
	v_cmp_eq_u32_e64 s[8:9], 0, v1
	v_cmp_eq_u32_e64 s[10:11], 63, v0
	v_cndmask_b32_e64 v20, v20, v1, s[12:13]
	v_lshlrev_b32_e32 v20, 2, v20
	v_cmp_eq_u32_e64 s[12:13], 0, v0
	v_cmp_lt_u32_e64 s[14:15], 31, v1
	s_movk_i32 s20, 0x64
	s_branch .LBB69_2
.LBB69_1:                               ;   in Loop: Header=BB69_2 Depth=1
	s_or_b64 exec, exec, s[16:17]
	ds_bpermute_b32 v0, v20, v0
	ds_bpermute_b32 v1, v20, v1
	s_add_i32 s20, s20, -1
	s_cmp_lg_u32 s20, 0
	s_waitcnt lgkmcnt(0)
	; wave barrier
	s_waitcnt lgkmcnt(0)
	v_add_f64 v[0:1], v[14:15], v[0:1]
	v_cndmask_b32_e64 v15, v1, v15, s[12:13]
	v_cndmask_b32_e64 v14, v0, v14, s[12:13]
	v_add_f64 v[16:17], v[16:17], v[14:15]
	v_add_f64 v[10:11], v[10:11], v[16:17]
	;; [unrolled: 1-line block ×7, first 2 shown]
	s_cbranch_scc0 .LBB69_4
.LBB69_2:                               ; =>This Inner Loop Header: Depth=1
	s_waitcnt vmcnt(0)
	v_add_f64 v[0:1], v[16:17], v[14:15]
	v_add_f64 v[0:1], v[10:11], v[0:1]
	;; [unrolled: 1-line block ×7, first 2 shown]
	s_nop 1
	v_mov_b32_dpp v22, v0 row_shr:1 row_mask:0xf bank_mask:0xf
	v_mov_b32_dpp v23, v1 row_shr:1 row_mask:0xf bank_mask:0xf
	v_add_f64 v[22:23], v[0:1], v[22:23]
	v_cndmask_b32_e32 v22, v22, v0, vcc
	v_cndmask_b32_e32 v23, v23, v1, vcc
	s_nop 0
	v_mov_b32_dpp v24, v22 row_shr:2 row_mask:0xf bank_mask:0xf
	v_mov_b32_dpp v25, v23 row_shr:2 row_mask:0xf bank_mask:0xf
	v_add_f64 v[24:25], v[22:23], v[24:25]
	v_cndmask_b32_e64 v22, v22, v24, s[0:1]
	v_cndmask_b32_e64 v23, v23, v25, s[0:1]
	s_nop 0
	v_mov_b32_dpp v24, v22 row_shr:4 row_mask:0xf bank_mask:0xf
	v_mov_b32_dpp v25, v23 row_shr:4 row_mask:0xf bank_mask:0xf
	v_add_f64 v[24:25], v[22:23], v[24:25]
	v_cndmask_b32_e64 v22, v22, v24, s[2:3]
	v_cndmask_b32_e64 v23, v23, v25, s[2:3]
	;; [unrolled: 6-line block ×3, first 2 shown]
	s_nop 0
	v_mov_b32_dpp v24, v22 row_bcast:15 row_mask:0xf bank_mask:0xf
	v_mov_b32_dpp v25, v23 row_bcast:15 row_mask:0xf bank_mask:0xf
	v_add_f64 v[24:25], v[22:23], v[24:25]
	v_cndmask_b32_e64 v22, v24, v22, s[6:7]
	v_cndmask_b32_e64 v23, v25, v23, s[6:7]
	s_nop 0
	v_mov_b32_dpp v24, v22 row_bcast:31 row_mask:0xf bank_mask:0xf
	v_mov_b32_dpp v25, v23 row_bcast:31 row_mask:0xf bank_mask:0xf
	v_add_f64 v[24:25], v[22:23], v[24:25]
	v_cndmask_b32_e64 v21, v22, v24, s[14:15]
	v_cndmask_b32_e64 v22, v23, v25, s[14:15]
	;; [unrolled: 1-line block ×4, first 2 shown]
	s_and_saveexec_b64 s[16:17], s[10:11]
	s_cbranch_execz .LBB69_1
; %bb.3:                                ;   in Loop: Header=BB69_2 Depth=1
	ds_write_b64 v19, v[0:1]
	s_branch .LBB69_1
.LBB69_4:
	v_mov_b32_e32 v0, s18
	v_mov_b32_e32 v1, s19
	v_lshl_add_u64 v[0:1], v[18:19], 3, v[0:1]
	global_store_dwordx4 v[0:1], v[14:17], off
	global_store_dwordx4 v[0:1], v[10:13], off offset:16
	global_store_dwordx4 v[0:1], v[6:9], off offset:32
	;; [unrolled: 1-line block ×3, first 2 shown]
	s_endpgm
	.section	.rodata,"a",@progbits
	.p2align	6, 0x0
	.amdhsa_kernel _Z6kernelI14inclusive_scanILN6hipcub18BlockScanAlgorithmE0EEdLj64ELj8ELj100EEvPKT0_PS4_S4_
		.amdhsa_group_segment_fixed_size 8
		.amdhsa_private_segment_fixed_size 0
		.amdhsa_kernarg_size 280
		.amdhsa_user_sgpr_count 2
		.amdhsa_user_sgpr_dispatch_ptr 0
		.amdhsa_user_sgpr_queue_ptr 0
		.amdhsa_user_sgpr_kernarg_segment_ptr 1
		.amdhsa_user_sgpr_dispatch_id 0
		.amdhsa_user_sgpr_kernarg_preload_length 0
		.amdhsa_user_sgpr_kernarg_preload_offset 0
		.amdhsa_user_sgpr_private_segment_size 0
		.amdhsa_uses_dynamic_stack 0
		.amdhsa_enable_private_segment 0
		.amdhsa_system_sgpr_workgroup_id_x 1
		.amdhsa_system_sgpr_workgroup_id_y 0
		.amdhsa_system_sgpr_workgroup_id_z 0
		.amdhsa_system_sgpr_workgroup_info 0
		.amdhsa_system_vgpr_workitem_id 0
		.amdhsa_next_free_vgpr 26
		.amdhsa_next_free_sgpr 21
		.amdhsa_accum_offset 28
		.amdhsa_reserve_vcc 1
		.amdhsa_float_round_mode_32 0
		.amdhsa_float_round_mode_16_64 0
		.amdhsa_float_denorm_mode_32 3
		.amdhsa_float_denorm_mode_16_64 3
		.amdhsa_dx10_clamp 1
		.amdhsa_ieee_mode 1
		.amdhsa_fp16_overflow 0
		.amdhsa_tg_split 0
		.amdhsa_exception_fp_ieee_invalid_op 0
		.amdhsa_exception_fp_denorm_src 0
		.amdhsa_exception_fp_ieee_div_zero 0
		.amdhsa_exception_fp_ieee_overflow 0
		.amdhsa_exception_fp_ieee_underflow 0
		.amdhsa_exception_fp_ieee_inexact 0
		.amdhsa_exception_int_div_zero 0
	.end_amdhsa_kernel
	.section	.text._Z6kernelI14inclusive_scanILN6hipcub18BlockScanAlgorithmE0EEdLj64ELj8ELj100EEvPKT0_PS4_S4_,"axG",@progbits,_Z6kernelI14inclusive_scanILN6hipcub18BlockScanAlgorithmE0EEdLj64ELj8ELj100EEvPKT0_PS4_S4_,comdat
.Lfunc_end69:
	.size	_Z6kernelI14inclusive_scanILN6hipcub18BlockScanAlgorithmE0EEdLj64ELj8ELj100EEvPKT0_PS4_S4_, .Lfunc_end69-_Z6kernelI14inclusive_scanILN6hipcub18BlockScanAlgorithmE0EEdLj64ELj8ELj100EEvPKT0_PS4_S4_
                                        ; -- End function
	.section	.AMDGPU.csdata,"",@progbits
; Kernel info:
; codeLenInByte = 744
; NumSgprs: 27
; NumVgprs: 26
; NumAgprs: 0
; TotalNumVgprs: 26
; ScratchSize: 0
; MemoryBound: 0
; FloatMode: 240
; IeeeMode: 1
; LDSByteSize: 8 bytes/workgroup (compile time only)
; SGPRBlocks: 3
; VGPRBlocks: 3
; NumSGPRsForWavesPerEU: 27
; NumVGPRsForWavesPerEU: 26
; AccumOffset: 28
; Occupancy: 8
; WaveLimiterHint : 0
; COMPUTE_PGM_RSRC2:SCRATCH_EN: 0
; COMPUTE_PGM_RSRC2:USER_SGPR: 2
; COMPUTE_PGM_RSRC2:TRAP_HANDLER: 0
; COMPUTE_PGM_RSRC2:TGID_X_EN: 1
; COMPUTE_PGM_RSRC2:TGID_Y_EN: 0
; COMPUTE_PGM_RSRC2:TGID_Z_EN: 0
; COMPUTE_PGM_RSRC2:TIDIG_COMP_CNT: 0
; COMPUTE_PGM_RSRC3_GFX90A:ACCUM_OFFSET: 6
; COMPUTE_PGM_RSRC3_GFX90A:TG_SPLIT: 0
	.section	.text._Z6kernelI14inclusive_scanILN6hipcub18BlockScanAlgorithmE0EEdLj64ELj11ELj100EEvPKT0_PS4_S4_,"axG",@progbits,_Z6kernelI14inclusive_scanILN6hipcub18BlockScanAlgorithmE0EEdLj64ELj11ELj100EEvPKT0_PS4_S4_,comdat
	.protected	_Z6kernelI14inclusive_scanILN6hipcub18BlockScanAlgorithmE0EEdLj64ELj11ELj100EEvPKT0_PS4_S4_ ; -- Begin function _Z6kernelI14inclusive_scanILN6hipcub18BlockScanAlgorithmE0EEdLj64ELj11ELj100EEvPKT0_PS4_S4_
	.globl	_Z6kernelI14inclusive_scanILN6hipcub18BlockScanAlgorithmE0EEdLj64ELj11ELj100EEvPKT0_PS4_S4_
	.p2align	8
	.type	_Z6kernelI14inclusive_scanILN6hipcub18BlockScanAlgorithmE0EEdLj64ELj11ELj100EEvPKT0_PS4_S4_,@function
_Z6kernelI14inclusive_scanILN6hipcub18BlockScanAlgorithmE0EEdLj64ELj11ELj100EEvPKT0_PS4_S4_: ; @_Z6kernelI14inclusive_scanILN6hipcub18BlockScanAlgorithmE0EEdLj64ELj11ELj100EEvPKT0_PS4_S4_
; %bb.0:
	s_load_dword s3, s[0:1], 0x24
	s_load_dwordx4 s[16:19], s[0:1], 0x0
	v_mov_b32_e32 v3, 0
	v_mov_b32_e32 v5, v3
	;; [unrolled: 1-line block ×3, first 2 shown]
	s_waitcnt lgkmcnt(0)
	s_and_b32 s0, s3, 0xffff
	s_mul_i32 s2, s2, s0
	v_add_u32_e32 v1, s2, v0
	v_mul_lo_u32 v2, v1, 11
	v_lshl_add_u64 v[18:19], v[2:3], 3, s[16:17]
	v_add_u32_e32 v4, 1, v2
	v_add_u32_e32 v6, 2, v2
	;; [unrolled: 1-line block ×3, first 2 shown]
	v_mov_b32_e32 v9, v3
	v_lshl_add_u64 v[20:21], v[4:5], 3, s[16:17]
	v_lshl_add_u64 v[22:23], v[6:7], 3, s[16:17]
	;; [unrolled: 1-line block ×3, first 2 shown]
	global_load_dwordx2 v[16:17], v[18:19], off
	global_load_dwordx2 v[14:15], v[20:21], off
	;; [unrolled: 1-line block ×4, first 2 shown]
	v_add_u32_e32 v18, 4, v2
	v_mov_b32_e32 v19, v3
	v_lshl_add_u64 v[34:35], v[18:19], 3, s[16:17]
	v_add_u32_e32 v20, 5, v2
	v_mov_b32_e32 v21, v3
	v_add_u32_e32 v22, 6, v2
	v_mov_b32_e32 v23, v3
	;; [unrolled: 2-line block ×3, first 2 shown]
	v_lshl_add_u64 v[36:37], v[20:21], 3, s[16:17]
	v_lshl_add_u64 v[38:39], v[22:23], 3, s[16:17]
	v_lshl_add_u64 v[40:41], v[24:25], 3, s[16:17]
	global_load_dwordx2 v[32:33], v[34:35], off
	global_load_dwordx2 v[30:31], v[36:37], off
	;; [unrolled: 1-line block ×4, first 2 shown]
	v_add_u32_e32 v34, 8, v2
	v_mov_b32_e32 v35, v3
	v_lshl_add_u64 v[46:47], v[34:35], 3, s[16:17]
	v_add_u32_e32 v36, 9, v2
	v_mov_b32_e32 v37, v3
	v_add_u32_e32 v38, 10, v2
	v_mov_b32_e32 v39, v3
	v_lshl_add_u64 v[48:49], v[36:37], 3, s[16:17]
	v_lshl_add_u64 v[50:51], v[38:39], 3, s[16:17]
	global_load_dwordx2 v[44:45], v[46:47], off
	global_load_dwordx2 v[42:43], v[48:49], off
	;; [unrolled: 1-line block ×3, first 2 shown]
	v_mbcnt_lo_u32_b32 v1, -1, 0
	v_mbcnt_hi_u32_b32 v1, -1, v1
	v_and_b32_e32 v46, 15, v1
	v_cmp_eq_u32_e32 vcc, 0, v46
	v_cmp_lt_u32_e64 s[0:1], 1, v46
	v_cmp_lt_u32_e64 s[2:3], 3, v46
	;; [unrolled: 1-line block ×3, first 2 shown]
	v_and_b32_e32 v46, 16, v1
	v_cmp_eq_u32_e64 s[6:7], 0, v46
	v_add_u32_e32 v46, -1, v1
	v_and_b32_e32 v47, 64, v1
	v_cmp_lt_i32_e64 s[12:13], v46, v47
	v_cmp_eq_u32_e64 s[8:9], 0, v1
	v_cmp_eq_u32_e64 s[10:11], 63, v0
	v_cndmask_b32_e64 v46, v46, v1, s[12:13]
	v_lshlrev_b32_e32 v46, 2, v46
	v_cmp_eq_u32_e64 s[12:13], 0, v0
	v_cmp_lt_u32_e64 s[14:15], 31, v1
	s_movk_i32 s20, 0x64
	s_branch .LBB70_2
.LBB70_1:                               ;   in Loop: Header=BB70_2 Depth=1
	s_or_b64 exec, exec, s[16:17]
	ds_bpermute_b32 v0, v46, v0
	ds_bpermute_b32 v1, v46, v1
	s_add_i32 s20, s20, -1
	s_cmp_lg_u32 s20, 0
	s_waitcnt lgkmcnt(0)
	; wave barrier
	s_waitcnt lgkmcnt(0)
	v_add_f64 v[0:1], v[16:17], v[0:1]
	v_cndmask_b32_e64 v17, v1, v17, s[12:13]
	v_cndmask_b32_e64 v16, v0, v16, s[12:13]
	v_add_f64 v[14:15], v[14:15], v[16:17]
	v_add_f64 v[12:13], v[12:13], v[14:15]
	;; [unrolled: 1-line block ×10, first 2 shown]
	s_cbranch_scc0 .LBB70_4
.LBB70_2:                               ; =>This Inner Loop Header: Depth=1
	s_waitcnt vmcnt(9)
	v_add_f64 v[0:1], v[14:15], v[16:17]
	s_waitcnt vmcnt(8)
	v_add_f64 v[0:1], v[12:13], v[0:1]
	;; [unrolled: 2-line block ×10, first 2 shown]
	s_nop 1
	v_mov_b32_dpp v48, v0 row_shr:1 row_mask:0xf bank_mask:0xf
	v_mov_b32_dpp v49, v1 row_shr:1 row_mask:0xf bank_mask:0xf
	v_add_f64 v[48:49], v[0:1], v[48:49]
	v_cndmask_b32_e32 v48, v48, v0, vcc
	v_cndmask_b32_e32 v49, v49, v1, vcc
	s_nop 0
	v_mov_b32_dpp v50, v48 row_shr:2 row_mask:0xf bank_mask:0xf
	v_mov_b32_dpp v51, v49 row_shr:2 row_mask:0xf bank_mask:0xf
	v_add_f64 v[50:51], v[48:49], v[50:51]
	v_cndmask_b32_e64 v48, v48, v50, s[0:1]
	v_cndmask_b32_e64 v49, v49, v51, s[0:1]
	s_nop 0
	v_mov_b32_dpp v50, v48 row_shr:4 row_mask:0xf bank_mask:0xf
	v_mov_b32_dpp v51, v49 row_shr:4 row_mask:0xf bank_mask:0xf
	v_add_f64 v[50:51], v[48:49], v[50:51]
	v_cndmask_b32_e64 v48, v48, v50, s[2:3]
	v_cndmask_b32_e64 v49, v49, v51, s[2:3]
	;; [unrolled: 6-line block ×3, first 2 shown]
	s_nop 0
	v_mov_b32_dpp v50, v48 row_bcast:15 row_mask:0xf bank_mask:0xf
	v_mov_b32_dpp v51, v49 row_bcast:15 row_mask:0xf bank_mask:0xf
	v_add_f64 v[50:51], v[48:49], v[50:51]
	v_cndmask_b32_e64 v48, v50, v48, s[6:7]
	v_cndmask_b32_e64 v49, v51, v49, s[6:7]
	s_nop 0
	v_mov_b32_dpp v50, v48 row_bcast:31 row_mask:0xf bank_mask:0xf
	v_mov_b32_dpp v51, v49 row_bcast:31 row_mask:0xf bank_mask:0xf
	v_add_f64 v[50:51], v[48:49], v[50:51]
	v_cndmask_b32_e64 v47, v48, v50, s[14:15]
	v_cndmask_b32_e64 v48, v49, v51, s[14:15]
	v_cndmask_b32_e64 v1, v48, v1, s[8:9]
	v_cndmask_b32_e64 v0, v47, v0, s[8:9]
	s_and_saveexec_b64 s[16:17], s[10:11]
	s_cbranch_execz .LBB70_1
; %bb.3:                                ;   in Loop: Header=BB70_2 Depth=1
	ds_write_b64 v3, v[0:1]
	s_branch .LBB70_1
.LBB70_4:
	v_lshl_add_u64 v[0:1], v[2:3], 3, s[18:19]
	global_store_dwordx2 v[0:1], v[16:17], off
	v_lshl_add_u64 v[0:1], v[4:5], 3, s[18:19]
	global_store_dwordx2 v[0:1], v[14:15], off
	;; [unrolled: 2-line block ×11, first 2 shown]
	s_endpgm
	.section	.rodata,"a",@progbits
	.p2align	6, 0x0
	.amdhsa_kernel _Z6kernelI14inclusive_scanILN6hipcub18BlockScanAlgorithmE0EEdLj64ELj11ELj100EEvPKT0_PS4_S4_
		.amdhsa_group_segment_fixed_size 8
		.amdhsa_private_segment_fixed_size 0
		.amdhsa_kernarg_size 280
		.amdhsa_user_sgpr_count 2
		.amdhsa_user_sgpr_dispatch_ptr 0
		.amdhsa_user_sgpr_queue_ptr 0
		.amdhsa_user_sgpr_kernarg_segment_ptr 1
		.amdhsa_user_sgpr_dispatch_id 0
		.amdhsa_user_sgpr_kernarg_preload_length 0
		.amdhsa_user_sgpr_kernarg_preload_offset 0
		.amdhsa_user_sgpr_private_segment_size 0
		.amdhsa_uses_dynamic_stack 0
		.amdhsa_enable_private_segment 0
		.amdhsa_system_sgpr_workgroup_id_x 1
		.amdhsa_system_sgpr_workgroup_id_y 0
		.amdhsa_system_sgpr_workgroup_id_z 0
		.amdhsa_system_sgpr_workgroup_info 0
		.amdhsa_system_vgpr_workitem_id 0
		.amdhsa_next_free_vgpr 52
		.amdhsa_next_free_sgpr 21
		.amdhsa_accum_offset 52
		.amdhsa_reserve_vcc 1
		.amdhsa_float_round_mode_32 0
		.amdhsa_float_round_mode_16_64 0
		.amdhsa_float_denorm_mode_32 3
		.amdhsa_float_denorm_mode_16_64 3
		.amdhsa_dx10_clamp 1
		.amdhsa_ieee_mode 1
		.amdhsa_fp16_overflow 0
		.amdhsa_tg_split 0
		.amdhsa_exception_fp_ieee_invalid_op 0
		.amdhsa_exception_fp_denorm_src 0
		.amdhsa_exception_fp_ieee_div_zero 0
		.amdhsa_exception_fp_ieee_overflow 0
		.amdhsa_exception_fp_ieee_underflow 0
		.amdhsa_exception_fp_ieee_inexact 0
		.amdhsa_exception_int_div_zero 0
	.end_amdhsa_kernel
	.section	.text._Z6kernelI14inclusive_scanILN6hipcub18BlockScanAlgorithmE0EEdLj64ELj11ELj100EEvPKT0_PS4_S4_,"axG",@progbits,_Z6kernelI14inclusive_scanILN6hipcub18BlockScanAlgorithmE0EEdLj64ELj11ELj100EEvPKT0_PS4_S4_,comdat
.Lfunc_end70:
	.size	_Z6kernelI14inclusive_scanILN6hipcub18BlockScanAlgorithmE0EEdLj64ELj11ELj100EEvPKT0_PS4_S4_, .Lfunc_end70-_Z6kernelI14inclusive_scanILN6hipcub18BlockScanAlgorithmE0EEdLj64ELj11ELj100EEvPKT0_PS4_S4_
                                        ; -- End function
	.section	.AMDGPU.csdata,"",@progbits
; Kernel info:
; codeLenInByte = 1168
; NumSgprs: 27
; NumVgprs: 52
; NumAgprs: 0
; TotalNumVgprs: 52
; ScratchSize: 0
; MemoryBound: 0
; FloatMode: 240
; IeeeMode: 1
; LDSByteSize: 8 bytes/workgroup (compile time only)
; SGPRBlocks: 3
; VGPRBlocks: 6
; NumSGPRsForWavesPerEU: 27
; NumVGPRsForWavesPerEU: 52
; AccumOffset: 52
; Occupancy: 8
; WaveLimiterHint : 0
; COMPUTE_PGM_RSRC2:SCRATCH_EN: 0
; COMPUTE_PGM_RSRC2:USER_SGPR: 2
; COMPUTE_PGM_RSRC2:TRAP_HANDLER: 0
; COMPUTE_PGM_RSRC2:TGID_X_EN: 1
; COMPUTE_PGM_RSRC2:TGID_Y_EN: 0
; COMPUTE_PGM_RSRC2:TGID_Z_EN: 0
; COMPUTE_PGM_RSRC2:TIDIG_COMP_CNT: 0
; COMPUTE_PGM_RSRC3_GFX90A:ACCUM_OFFSET: 12
; COMPUTE_PGM_RSRC3_GFX90A:TG_SPLIT: 0
	.section	.text._Z6kernelI14inclusive_scanILN6hipcub18BlockScanAlgorithmE0EEdLj64ELj16ELj100EEvPKT0_PS4_S4_,"axG",@progbits,_Z6kernelI14inclusive_scanILN6hipcub18BlockScanAlgorithmE0EEdLj64ELj16ELj100EEvPKT0_PS4_S4_,comdat
	.protected	_Z6kernelI14inclusive_scanILN6hipcub18BlockScanAlgorithmE0EEdLj64ELj16ELj100EEvPKT0_PS4_S4_ ; -- Begin function _Z6kernelI14inclusive_scanILN6hipcub18BlockScanAlgorithmE0EEdLj64ELj16ELj100EEvPKT0_PS4_S4_
	.globl	_Z6kernelI14inclusive_scanILN6hipcub18BlockScanAlgorithmE0EEdLj64ELj16ELj100EEvPKT0_PS4_S4_
	.p2align	8
	.type	_Z6kernelI14inclusive_scanILN6hipcub18BlockScanAlgorithmE0EEdLj64ELj16ELj100EEvPKT0_PS4_S4_,@function
_Z6kernelI14inclusive_scanILN6hipcub18BlockScanAlgorithmE0EEdLj64ELj16ELj100EEvPKT0_PS4_S4_: ; @_Z6kernelI14inclusive_scanILN6hipcub18BlockScanAlgorithmE0EEdLj64ELj16ELj100EEvPKT0_PS4_S4_
; %bb.0:
	s_load_dwordx4 s[16:19], s[0:1], 0x0
	s_load_dword s3, s[0:1], 0x24
	v_mov_b32_e32 v35, 0
	v_mbcnt_lo_u32_b32 v1, -1, 0
	v_mbcnt_hi_u32_b32 v1, -1, v1
	s_waitcnt lgkmcnt(0)
	v_mov_b32_e32 v2, s16
	s_and_b32 s0, s3, 0xffff
	s_mul_i32 s2, s2, s0
	v_mov_b32_e32 v3, s17
	v_add_lshl_u32 v34, s2, v0, 4
	v_lshl_add_u64 v[36:37], v[34:35], 3, v[2:3]
	global_load_dwordx4 v[2:5], v[36:37], off offset:48
	global_load_dwordx4 v[10:13], v[36:37], off offset:32
	;; [unrolled: 1-line block ×3, first 2 shown]
	global_load_dwordx4 v[26:29], v[36:37], off
	global_load_dwordx4 v[6:9], v[36:37], off offset:112
	global_load_dwordx4 v[14:17], v[36:37], off offset:96
	;; [unrolled: 1-line block ×4, first 2 shown]
	v_and_b32_e32 v36, 15, v1
	v_cmp_eq_u32_e32 vcc, 0, v36
	v_cmp_lt_u32_e64 s[0:1], 1, v36
	v_cmp_lt_u32_e64 s[2:3], 3, v36
	;; [unrolled: 1-line block ×3, first 2 shown]
	v_and_b32_e32 v36, 16, v1
	v_cmp_eq_u32_e64 s[6:7], 0, v36
	v_add_u32_e32 v36, -1, v1
	v_and_b32_e32 v37, 64, v1
	v_cmp_lt_i32_e64 s[12:13], v36, v37
	v_cmp_eq_u32_e64 s[8:9], 0, v1
	v_cmp_eq_u32_e64 s[10:11], 63, v0
	v_cndmask_b32_e64 v36, v36, v1, s[12:13]
	v_lshlrev_b32_e32 v36, 2, v36
	v_cmp_eq_u32_e64 s[12:13], 0, v0
	v_cmp_lt_u32_e64 s[14:15], 31, v1
	s_movk_i32 s20, 0x64
	s_branch .LBB71_2
.LBB71_1:                               ;   in Loop: Header=BB71_2 Depth=1
	s_or_b64 exec, exec, s[16:17]
	ds_bpermute_b32 v0, v36, v0
	ds_bpermute_b32 v1, v36, v1
	s_add_i32 s20, s20, -1
	s_cmp_lg_u32 s20, 0
	s_waitcnt lgkmcnt(0)
	; wave barrier
	s_waitcnt lgkmcnt(0)
	v_add_f64 v[0:1], v[26:27], v[0:1]
	v_cndmask_b32_e64 v27, v1, v27, s[12:13]
	v_cndmask_b32_e64 v26, v0, v26, s[12:13]
	v_add_f64 v[28:29], v[28:29], v[26:27]
	v_add_f64 v[18:19], v[18:19], v[28:29]
	v_add_f64 v[20:21], v[20:21], v[18:19]
	v_add_f64 v[10:11], v[10:11], v[20:21]
	v_add_f64 v[12:13], v[12:13], v[10:11]
	v_add_f64 v[2:3], v[2:3], v[12:13]
	v_add_f64 v[4:5], v[4:5], v[2:3]
	v_add_f64 v[30:31], v[30:31], v[4:5]
	v_add_f64 v[32:33], v[32:33], v[30:31]
	v_add_f64 v[22:23], v[22:23], v[32:33]
	v_add_f64 v[24:25], v[24:25], v[22:23]
	v_add_f64 v[14:15], v[14:15], v[24:25]
	v_add_f64 v[16:17], v[16:17], v[14:15]
	v_add_f64 v[6:7], v[6:7], v[16:17]
	v_add_f64 v[8:9], v[8:9], v[6:7]
	s_cbranch_scc0 .LBB71_4
.LBB71_2:                               ; =>This Inner Loop Header: Depth=1
	s_waitcnt vmcnt(4)
	v_add_f64 v[0:1], v[28:29], v[26:27]
	v_add_f64 v[0:1], v[18:19], v[0:1]
	v_add_f64 v[0:1], v[20:21], v[0:1]
	v_add_f64 v[0:1], v[10:11], v[0:1]
	v_add_f64 v[0:1], v[12:13], v[0:1]
	v_add_f64 v[0:1], v[2:3], v[0:1]
	v_add_f64 v[0:1], v[4:5], v[0:1]
	s_waitcnt vmcnt(0)
	v_add_f64 v[0:1], v[30:31], v[0:1]
	v_add_f64 v[0:1], v[32:33], v[0:1]
	;; [unrolled: 1-line block ×8, first 2 shown]
	s_nop 1
	v_mov_b32_dpp v38, v0 row_shr:1 row_mask:0xf bank_mask:0xf
	v_mov_b32_dpp v39, v1 row_shr:1 row_mask:0xf bank_mask:0xf
	v_add_f64 v[38:39], v[0:1], v[38:39]
	v_cndmask_b32_e32 v38, v38, v0, vcc
	v_cndmask_b32_e32 v39, v39, v1, vcc
	s_nop 0
	v_mov_b32_dpp v40, v38 row_shr:2 row_mask:0xf bank_mask:0xf
	v_mov_b32_dpp v41, v39 row_shr:2 row_mask:0xf bank_mask:0xf
	v_add_f64 v[40:41], v[38:39], v[40:41]
	v_cndmask_b32_e64 v38, v38, v40, s[0:1]
	v_cndmask_b32_e64 v39, v39, v41, s[0:1]
	s_nop 0
	v_mov_b32_dpp v40, v38 row_shr:4 row_mask:0xf bank_mask:0xf
	v_mov_b32_dpp v41, v39 row_shr:4 row_mask:0xf bank_mask:0xf
	v_add_f64 v[40:41], v[38:39], v[40:41]
	v_cndmask_b32_e64 v38, v38, v40, s[2:3]
	v_cndmask_b32_e64 v39, v39, v41, s[2:3]
	;; [unrolled: 6-line block ×3, first 2 shown]
	s_nop 0
	v_mov_b32_dpp v40, v38 row_bcast:15 row_mask:0xf bank_mask:0xf
	v_mov_b32_dpp v41, v39 row_bcast:15 row_mask:0xf bank_mask:0xf
	v_add_f64 v[40:41], v[38:39], v[40:41]
	v_cndmask_b32_e64 v38, v40, v38, s[6:7]
	v_cndmask_b32_e64 v39, v41, v39, s[6:7]
	s_nop 0
	v_mov_b32_dpp v40, v38 row_bcast:31 row_mask:0xf bank_mask:0xf
	v_mov_b32_dpp v41, v39 row_bcast:31 row_mask:0xf bank_mask:0xf
	v_add_f64 v[40:41], v[38:39], v[40:41]
	v_cndmask_b32_e64 v37, v38, v40, s[14:15]
	v_cndmask_b32_e64 v38, v39, v41, s[14:15]
	;; [unrolled: 1-line block ×4, first 2 shown]
	s_and_saveexec_b64 s[16:17], s[10:11]
	s_cbranch_execz .LBB71_1
; %bb.3:                                ;   in Loop: Header=BB71_2 Depth=1
	ds_write_b64 v35, v[0:1]
	s_branch .LBB71_1
.LBB71_4:
	v_mov_b32_e32 v0, s18
	v_mov_b32_e32 v1, s19
	v_lshl_add_u64 v[0:1], v[34:35], 3, v[0:1]
	global_store_dwordx4 v[0:1], v[26:29], off
	global_store_dwordx4 v[0:1], v[18:21], off offset:16
	global_store_dwordx4 v[0:1], v[10:13], off offset:32
	;; [unrolled: 1-line block ×7, first 2 shown]
	s_endpgm
	.section	.rodata,"a",@progbits
	.p2align	6, 0x0
	.amdhsa_kernel _Z6kernelI14inclusive_scanILN6hipcub18BlockScanAlgorithmE0EEdLj64ELj16ELj100EEvPKT0_PS4_S4_
		.amdhsa_group_segment_fixed_size 8
		.amdhsa_private_segment_fixed_size 0
		.amdhsa_kernarg_size 280
		.amdhsa_user_sgpr_count 2
		.amdhsa_user_sgpr_dispatch_ptr 0
		.amdhsa_user_sgpr_queue_ptr 0
		.amdhsa_user_sgpr_kernarg_segment_ptr 1
		.amdhsa_user_sgpr_dispatch_id 0
		.amdhsa_user_sgpr_kernarg_preload_length 0
		.amdhsa_user_sgpr_kernarg_preload_offset 0
		.amdhsa_user_sgpr_private_segment_size 0
		.amdhsa_uses_dynamic_stack 0
		.amdhsa_enable_private_segment 0
		.amdhsa_system_sgpr_workgroup_id_x 1
		.amdhsa_system_sgpr_workgroup_id_y 0
		.amdhsa_system_sgpr_workgroup_id_z 0
		.amdhsa_system_sgpr_workgroup_info 0
		.amdhsa_system_vgpr_workitem_id 0
		.amdhsa_next_free_vgpr 42
		.amdhsa_next_free_sgpr 21
		.amdhsa_accum_offset 44
		.amdhsa_reserve_vcc 1
		.amdhsa_float_round_mode_32 0
		.amdhsa_float_round_mode_16_64 0
		.amdhsa_float_denorm_mode_32 3
		.amdhsa_float_denorm_mode_16_64 3
		.amdhsa_dx10_clamp 1
		.amdhsa_ieee_mode 1
		.amdhsa_fp16_overflow 0
		.amdhsa_tg_split 0
		.amdhsa_exception_fp_ieee_invalid_op 0
		.amdhsa_exception_fp_denorm_src 0
		.amdhsa_exception_fp_ieee_div_zero 0
		.amdhsa_exception_fp_ieee_overflow 0
		.amdhsa_exception_fp_ieee_underflow 0
		.amdhsa_exception_fp_ieee_inexact 0
		.amdhsa_exception_int_div_zero 0
	.end_amdhsa_kernel
	.section	.text._Z6kernelI14inclusive_scanILN6hipcub18BlockScanAlgorithmE0EEdLj64ELj16ELj100EEvPKT0_PS4_S4_,"axG",@progbits,_Z6kernelI14inclusive_scanILN6hipcub18BlockScanAlgorithmE0EEdLj64ELj16ELj100EEvPKT0_PS4_S4_,comdat
.Lfunc_end71:
	.size	_Z6kernelI14inclusive_scanILN6hipcub18BlockScanAlgorithmE0EEdLj64ELj16ELj100EEvPKT0_PS4_S4_, .Lfunc_end71-_Z6kernelI14inclusive_scanILN6hipcub18BlockScanAlgorithmE0EEdLj64ELj16ELj100EEvPKT0_PS4_S4_
                                        ; -- End function
	.section	.AMDGPU.csdata,"",@progbits
; Kernel info:
; codeLenInByte = 940
; NumSgprs: 27
; NumVgprs: 42
; NumAgprs: 0
; TotalNumVgprs: 42
; ScratchSize: 0
; MemoryBound: 1
; FloatMode: 240
; IeeeMode: 1
; LDSByteSize: 8 bytes/workgroup (compile time only)
; SGPRBlocks: 3
; VGPRBlocks: 5
; NumSGPRsForWavesPerEU: 27
; NumVGPRsForWavesPerEU: 42
; AccumOffset: 44
; Occupancy: 8
; WaveLimiterHint : 0
; COMPUTE_PGM_RSRC2:SCRATCH_EN: 0
; COMPUTE_PGM_RSRC2:USER_SGPR: 2
; COMPUTE_PGM_RSRC2:TRAP_HANDLER: 0
; COMPUTE_PGM_RSRC2:TGID_X_EN: 1
; COMPUTE_PGM_RSRC2:TGID_Y_EN: 0
; COMPUTE_PGM_RSRC2:TGID_Z_EN: 0
; COMPUTE_PGM_RSRC2:TIDIG_COMP_CNT: 0
; COMPUTE_PGM_RSRC3_GFX90A:ACCUM_OFFSET: 10
; COMPUTE_PGM_RSRC3_GFX90A:TG_SPLIT: 0
	.section	.text._Z6kernelI14inclusive_scanILN6hipcub18BlockScanAlgorithmE0EEhLj64ELj1ELj100EEvPKT0_PS4_S4_,"axG",@progbits,_Z6kernelI14inclusive_scanILN6hipcub18BlockScanAlgorithmE0EEhLj64ELj1ELj100EEvPKT0_PS4_S4_,comdat
	.protected	_Z6kernelI14inclusive_scanILN6hipcub18BlockScanAlgorithmE0EEhLj64ELj1ELj100EEvPKT0_PS4_S4_ ; -- Begin function _Z6kernelI14inclusive_scanILN6hipcub18BlockScanAlgorithmE0EEhLj64ELj1ELj100EEvPKT0_PS4_S4_
	.globl	_Z6kernelI14inclusive_scanILN6hipcub18BlockScanAlgorithmE0EEhLj64ELj1ELj100EEvPKT0_PS4_S4_
	.p2align	8
	.type	_Z6kernelI14inclusive_scanILN6hipcub18BlockScanAlgorithmE0EEhLj64ELj1ELj100EEvPKT0_PS4_S4_,@function
_Z6kernelI14inclusive_scanILN6hipcub18BlockScanAlgorithmE0EEhLj64ELj1ELj100EEvPKT0_PS4_S4_: ; @_Z6kernelI14inclusive_scanILN6hipcub18BlockScanAlgorithmE0EEhLj64ELj1ELj100EEvPKT0_PS4_S4_
; %bb.0:
	s_load_dword s3, s[0:1], 0x24
	s_load_dwordx4 s[12:15], s[0:1], 0x0
	v_mbcnt_lo_u32_b32 v4, -1, 0
	v_mbcnt_hi_u32_b32 v4, -1, v4
	v_and_b32_e32 v5, 15, v4
	s_waitcnt lgkmcnt(0)
	s_and_b32 s0, s3, 0xffff
	s_mul_i32 s2, s2, s0
	v_add_u32_e32 v2, s2, v0
	global_load_ubyte v1, v2, s[12:13]
	v_cmp_eq_u32_e32 vcc, 0, v5
	v_cmp_lt_u32_e64 s[0:1], 1, v5
	v_cmp_lt_u32_e64 s[2:3], 3, v5
	v_cmp_lt_u32_e64 s[4:5], 7, v5
	v_and_b32_e32 v5, 16, v4
	v_mov_b32_e32 v3, 0
	v_cmp_eq_u32_e64 s[6:7], 0, v5
	v_cmp_lt_u32_e64 s[8:9], 31, v4
	v_cmp_eq_u32_e64 s[10:11], 63, v0
	s_movk_i32 s16, 0x64
	s_branch .LBB72_2
.LBB72_1:                               ;   in Loop: Header=BB72_2 Depth=1
	s_or_b64 exec, exec, s[12:13]
	s_add_i32 s16, s16, -1
	s_cmp_lg_u32 s16, 0
	s_waitcnt lgkmcnt(0)
	; wave barrier
	s_waitcnt lgkmcnt(0)
	s_cbranch_scc0 .LBB72_4
.LBB72_2:                               ; =>This Inner Loop Header: Depth=1
	s_waitcnt vmcnt(0)
	v_and_b32_e32 v0, 0xff, v1
	s_nop 1
	v_mov_b32_dpp v0, v0 row_shr:1 row_mask:0xf bank_mask:0xf
	v_cndmask_b32_e64 v0, v0, 0, vcc
	v_add_u16_e32 v0, v0, v1
	v_and_b32_e32 v1, 0xff, v0
	s_nop 1
	v_mov_b32_dpp v1, v1 row_shr:2 row_mask:0xf bank_mask:0xf
	v_cndmask_b32_e64 v1, 0, v1, s[0:1]
	v_add_u16_e32 v0, v0, v1
	v_and_b32_e32 v1, 0xff, v0
	s_nop 1
	v_mov_b32_dpp v1, v1 row_shr:4 row_mask:0xf bank_mask:0xf
	v_cndmask_b32_e64 v1, 0, v1, s[2:3]
	;; [unrolled: 5-line block ×3, first 2 shown]
	v_add_u16_e32 v0, v0, v1
	v_and_b32_e32 v1, 0xff, v0
	s_nop 1
	v_mov_b32_dpp v1, v1 row_bcast:15 row_mask:0xf bank_mask:0xf
	v_cndmask_b32_e64 v1, v1, 0, s[6:7]
	v_add_u16_e32 v0, v0, v1
	v_and_b32_e32 v1, 0xff, v0
	s_nop 1
	v_mov_b32_dpp v1, v1 row_bcast:31 row_mask:0xf bank_mask:0xf
	v_cndmask_b32_e64 v1, 0, v1, s[8:9]
	v_add_u16_e32 v1, v0, v1
	s_and_saveexec_b64 s[12:13], s[10:11]
	s_cbranch_execz .LBB72_1
; %bb.3:                                ;   in Loop: Header=BB72_2 Depth=1
	ds_write_b8 v3, v1
	s_branch .LBB72_1
.LBB72_4:
	v_lshl_add_u64 v[2:3], s[14:15], 0, v[2:3]
	global_store_byte v[2:3], v1, off
	s_endpgm
	.section	.rodata,"a",@progbits
	.p2align	6, 0x0
	.amdhsa_kernel _Z6kernelI14inclusive_scanILN6hipcub18BlockScanAlgorithmE0EEhLj64ELj1ELj100EEvPKT0_PS4_S4_
		.amdhsa_group_segment_fixed_size 1
		.amdhsa_private_segment_fixed_size 0
		.amdhsa_kernarg_size 280
		.amdhsa_user_sgpr_count 2
		.amdhsa_user_sgpr_dispatch_ptr 0
		.amdhsa_user_sgpr_queue_ptr 0
		.amdhsa_user_sgpr_kernarg_segment_ptr 1
		.amdhsa_user_sgpr_dispatch_id 0
		.amdhsa_user_sgpr_kernarg_preload_length 0
		.amdhsa_user_sgpr_kernarg_preload_offset 0
		.amdhsa_user_sgpr_private_segment_size 0
		.amdhsa_uses_dynamic_stack 0
		.amdhsa_enable_private_segment 0
		.amdhsa_system_sgpr_workgroup_id_x 1
		.amdhsa_system_sgpr_workgroup_id_y 0
		.amdhsa_system_sgpr_workgroup_id_z 0
		.amdhsa_system_sgpr_workgroup_info 0
		.amdhsa_system_vgpr_workitem_id 0
		.amdhsa_next_free_vgpr 6
		.amdhsa_next_free_sgpr 17
		.amdhsa_accum_offset 8
		.amdhsa_reserve_vcc 1
		.amdhsa_float_round_mode_32 0
		.amdhsa_float_round_mode_16_64 0
		.amdhsa_float_denorm_mode_32 3
		.amdhsa_float_denorm_mode_16_64 3
		.amdhsa_dx10_clamp 1
		.amdhsa_ieee_mode 1
		.amdhsa_fp16_overflow 0
		.amdhsa_tg_split 0
		.amdhsa_exception_fp_ieee_invalid_op 0
		.amdhsa_exception_fp_denorm_src 0
		.amdhsa_exception_fp_ieee_div_zero 0
		.amdhsa_exception_fp_ieee_overflow 0
		.amdhsa_exception_fp_ieee_underflow 0
		.amdhsa_exception_fp_ieee_inexact 0
		.amdhsa_exception_int_div_zero 0
	.end_amdhsa_kernel
	.section	.text._Z6kernelI14inclusive_scanILN6hipcub18BlockScanAlgorithmE0EEhLj64ELj1ELj100EEvPKT0_PS4_S4_,"axG",@progbits,_Z6kernelI14inclusive_scanILN6hipcub18BlockScanAlgorithmE0EEhLj64ELj1ELj100EEvPKT0_PS4_S4_,comdat
.Lfunc_end72:
	.size	_Z6kernelI14inclusive_scanILN6hipcub18BlockScanAlgorithmE0EEhLj64ELj1ELj100EEvPKT0_PS4_S4_, .Lfunc_end72-_Z6kernelI14inclusive_scanILN6hipcub18BlockScanAlgorithmE0EEhLj64ELj1ELj100EEvPKT0_PS4_S4_
                                        ; -- End function
	.section	.AMDGPU.csdata,"",@progbits
; Kernel info:
; codeLenInByte = 392
; NumSgprs: 23
; NumVgprs: 6
; NumAgprs: 0
; TotalNumVgprs: 6
; ScratchSize: 0
; MemoryBound: 0
; FloatMode: 240
; IeeeMode: 1
; LDSByteSize: 1 bytes/workgroup (compile time only)
; SGPRBlocks: 2
; VGPRBlocks: 0
; NumSGPRsForWavesPerEU: 23
; NumVGPRsForWavesPerEU: 6
; AccumOffset: 8
; Occupancy: 8
; WaveLimiterHint : 0
; COMPUTE_PGM_RSRC2:SCRATCH_EN: 0
; COMPUTE_PGM_RSRC2:USER_SGPR: 2
; COMPUTE_PGM_RSRC2:TRAP_HANDLER: 0
; COMPUTE_PGM_RSRC2:TGID_X_EN: 1
; COMPUTE_PGM_RSRC2:TGID_Y_EN: 0
; COMPUTE_PGM_RSRC2:TGID_Z_EN: 0
; COMPUTE_PGM_RSRC2:TIDIG_COMP_CNT: 0
; COMPUTE_PGM_RSRC3_GFX90A:ACCUM_OFFSET: 1
; COMPUTE_PGM_RSRC3_GFX90A:TG_SPLIT: 0
	.section	.text._Z6kernelI14inclusive_scanILN6hipcub18BlockScanAlgorithmE0EEhLj64ELj3ELj100EEvPKT0_PS4_S4_,"axG",@progbits,_Z6kernelI14inclusive_scanILN6hipcub18BlockScanAlgorithmE0EEhLj64ELj3ELj100EEvPKT0_PS4_S4_,comdat
	.protected	_Z6kernelI14inclusive_scanILN6hipcub18BlockScanAlgorithmE0EEhLj64ELj3ELj100EEvPKT0_PS4_S4_ ; -- Begin function _Z6kernelI14inclusive_scanILN6hipcub18BlockScanAlgorithmE0EEhLj64ELj3ELj100EEvPKT0_PS4_S4_
	.globl	_Z6kernelI14inclusive_scanILN6hipcub18BlockScanAlgorithmE0EEhLj64ELj3ELj100EEvPKT0_PS4_S4_
	.p2align	8
	.type	_Z6kernelI14inclusive_scanILN6hipcub18BlockScanAlgorithmE0EEhLj64ELj3ELj100EEvPKT0_PS4_S4_,@function
_Z6kernelI14inclusive_scanILN6hipcub18BlockScanAlgorithmE0EEhLj64ELj3ELj100EEvPKT0_PS4_S4_: ; @_Z6kernelI14inclusive_scanILN6hipcub18BlockScanAlgorithmE0EEhLj64ELj3ELj100EEvPKT0_PS4_S4_
; %bb.0:
	s_load_dword s3, s[0:1], 0x24
	s_load_dwordx4 s[16:19], s[0:1], 0x0
	v_mbcnt_lo_u32_b32 v10, -1, 0
	v_mbcnt_hi_u32_b32 v10, -1, v10
	v_add_u32_e32 v12, -1, v10
	s_waitcnt lgkmcnt(0)
	s_and_b32 s0, s3, 0xffff
	s_mul_i32 s2, s2, s0
	v_add_u32_e32 v1, s2, v0
	v_lshl_add_u32 v2, v1, 1, v1
	v_add_u32_e32 v4, 1, v2
	global_load_ubyte v1, v4, s[16:17]
	global_load_ubyte v8, v2, s[16:17]
	v_add_u32_e32 v6, 2, v2
	global_load_ubyte v9, v6, s[16:17]
	v_and_b32_e32 v13, 64, v10
	v_cmp_eq_u32_e32 vcc, 63, v0
	v_cmp_eq_u32_e64 s[0:1], 0, v0
	v_and_b32_e32 v0, 15, v10
	v_cmp_lt_i32_e64 s[14:15], v12, v13
	v_mov_b32_e32 v3, 0
	v_and_b32_e32 v11, 16, v10
	v_cmp_eq_u32_e64 s[4:5], 0, v0
	v_cmp_lt_u32_e64 s[6:7], 1, v0
	v_cmp_lt_u32_e64 s[8:9], 3, v0
	;; [unrolled: 1-line block ×3, first 2 shown]
	v_cndmask_b32_e64 v0, v12, v10, s[14:15]
	v_mov_b32_e32 v5, v3
	v_mov_b32_e32 v7, v3
	v_cmp_lt_u32_e64 s[2:3], 31, v10
	v_cmp_eq_u32_e64 s[12:13], 0, v11
	v_lshlrev_b32_e32 v0, 2, v0
	s_movk_i32 s16, 0x64
	s_waitcnt vmcnt(2)
	v_lshlrev_b16_e32 v1, 8, v1
	s_waitcnt vmcnt(1)
	v_or_b32_e32 v1, v8, v1
	v_and_b32_e32 v1, 0xffff, v1
	s_waitcnt vmcnt(0)
	v_lshl_or_b32 v1, v9, 16, v1
	s_branch .LBB73_2
.LBB73_1:                               ;   in Loop: Header=BB73_2 Depth=1
	s_or_b64 exec, exec, s[14:15]
	v_and_b32_e32 v9, 0xff, v9
	ds_bpermute_b32 v9, v0, v9
	s_add_i32 s16, s16, -1
	s_cmp_lg_u32 s16, 0
	s_waitcnt lgkmcnt(0)
	; wave barrier
	s_waitcnt lgkmcnt(0)
	v_cndmask_b32_e64 v9, v9, 0, s[0:1]
	v_add_u16_e32 v10, v9, v1
	v_add_u16_e32 v9, v10, v8
	v_add_u16_sdwa v8, v9, v1 dst_sel:DWORD dst_unused:UNUSED_PAD src0_sel:DWORD src1_sel:WORD_1
	v_lshlrev_b16_e32 v1, 8, v9
	v_and_b32_e32 v11, 0xff, v8
	v_or_b32_sdwa v1, v10, v1 dst_sel:DWORD dst_unused:UNUSED_PAD src0_sel:BYTE_0 src1_sel:DWORD
	v_lshlrev_b32_e32 v11, 16, v11
	v_or_b32_sdwa v1, v1, v11 dst_sel:DWORD dst_unused:UNUSED_PAD src0_sel:WORD_0 src1_sel:DWORD
	s_cbranch_scc0 .LBB73_4
.LBB73_2:                               ; =>This Inner Loop Header: Depth=1
	v_lshrrev_b32_e32 v8, 8, v1
	v_add_u16_e32 v9, v8, v1
	v_add_u16_sdwa v9, v9, v1 dst_sel:DWORD dst_unused:UNUSED_PAD src0_sel:DWORD src1_sel:WORD_1
	v_and_b32_e32 v10, 0xff, v9
	s_nop 1
	v_mov_b32_dpp v10, v10 row_shr:1 row_mask:0xf bank_mask:0xf
	v_cndmask_b32_e64 v10, v10, 0, s[4:5]
	v_add_u16_e32 v9, v10, v9
	v_and_b32_e32 v10, 0xff, v9
	s_nop 1
	v_mov_b32_dpp v10, v10 row_shr:2 row_mask:0xf bank_mask:0xf
	v_cndmask_b32_e64 v10, 0, v10, s[6:7]
	v_add_u16_e32 v9, v9, v10
	v_and_b32_e32 v10, 0xff, v9
	s_nop 1
	v_mov_b32_dpp v10, v10 row_shr:4 row_mask:0xf bank_mask:0xf
	v_cndmask_b32_e64 v10, 0, v10, s[8:9]
	v_add_u16_e32 v9, v9, v10
	v_and_b32_e32 v10, 0xff, v9
	s_nop 1
	v_mov_b32_dpp v10, v10 row_shr:8 row_mask:0xf bank_mask:0xf
	v_cndmask_b32_e64 v10, 0, v10, s[10:11]
	v_add_u16_e32 v9, v9, v10
	v_and_b32_e32 v10, 0xff, v9
	s_nop 1
	v_mov_b32_dpp v10, v10 row_bcast:15 row_mask:0xf bank_mask:0xf
	v_cndmask_b32_e64 v10, v10, 0, s[12:13]
	v_add_u16_e32 v9, v9, v10
	v_and_b32_e32 v10, 0xff, v9
	s_nop 1
	v_mov_b32_dpp v10, v10 row_bcast:31 row_mask:0xf bank_mask:0xf
	v_cndmask_b32_e64 v10, 0, v10, s[2:3]
	v_add_u16_e32 v9, v9, v10
	s_and_saveexec_b64 s[14:15], vcc
	s_cbranch_execz .LBB73_1
; %bb.3:                                ;   in Loop: Header=BB73_2 Depth=1
	ds_write_b8 v3, v9
	s_branch .LBB73_1
.LBB73_4:
	v_lshl_add_u64 v[0:1], s[18:19], 0, v[2:3]
	global_store_byte v[0:1], v10, off
	v_lshl_add_u64 v[0:1], s[18:19], 0, v[4:5]
	global_store_byte v[0:1], v9, off
	;; [unrolled: 2-line block ×3, first 2 shown]
	s_endpgm
	.section	.rodata,"a",@progbits
	.p2align	6, 0x0
	.amdhsa_kernel _Z6kernelI14inclusive_scanILN6hipcub18BlockScanAlgorithmE0EEhLj64ELj3ELj100EEvPKT0_PS4_S4_
		.amdhsa_group_segment_fixed_size 1
		.amdhsa_private_segment_fixed_size 0
		.amdhsa_kernarg_size 280
		.amdhsa_user_sgpr_count 2
		.amdhsa_user_sgpr_dispatch_ptr 0
		.amdhsa_user_sgpr_queue_ptr 0
		.amdhsa_user_sgpr_kernarg_segment_ptr 1
		.amdhsa_user_sgpr_dispatch_id 0
		.amdhsa_user_sgpr_kernarg_preload_length 0
		.amdhsa_user_sgpr_kernarg_preload_offset 0
		.amdhsa_user_sgpr_private_segment_size 0
		.amdhsa_uses_dynamic_stack 0
		.amdhsa_enable_private_segment 0
		.amdhsa_system_sgpr_workgroup_id_x 1
		.amdhsa_system_sgpr_workgroup_id_y 0
		.amdhsa_system_sgpr_workgroup_id_z 0
		.amdhsa_system_sgpr_workgroup_info 0
		.amdhsa_system_vgpr_workitem_id 0
		.amdhsa_next_free_vgpr 14
		.amdhsa_next_free_sgpr 20
		.amdhsa_accum_offset 16
		.amdhsa_reserve_vcc 1
		.amdhsa_float_round_mode_32 0
		.amdhsa_float_round_mode_16_64 0
		.amdhsa_float_denorm_mode_32 3
		.amdhsa_float_denorm_mode_16_64 3
		.amdhsa_dx10_clamp 1
		.amdhsa_ieee_mode 1
		.amdhsa_fp16_overflow 0
		.amdhsa_tg_split 0
		.amdhsa_exception_fp_ieee_invalid_op 0
		.amdhsa_exception_fp_denorm_src 0
		.amdhsa_exception_fp_ieee_div_zero 0
		.amdhsa_exception_fp_ieee_overflow 0
		.amdhsa_exception_fp_ieee_underflow 0
		.amdhsa_exception_fp_ieee_inexact 0
		.amdhsa_exception_int_div_zero 0
	.end_amdhsa_kernel
	.section	.text._Z6kernelI14inclusive_scanILN6hipcub18BlockScanAlgorithmE0EEhLj64ELj3ELj100EEvPKT0_PS4_S4_,"axG",@progbits,_Z6kernelI14inclusive_scanILN6hipcub18BlockScanAlgorithmE0EEhLj64ELj3ELj100EEvPKT0_PS4_S4_,comdat
.Lfunc_end73:
	.size	_Z6kernelI14inclusive_scanILN6hipcub18BlockScanAlgorithmE0EEhLj64ELj3ELj100EEvPKT0_PS4_S4_, .Lfunc_end73-_Z6kernelI14inclusive_scanILN6hipcub18BlockScanAlgorithmE0EEhLj64ELj3ELj100EEvPKT0_PS4_S4_
                                        ; -- End function
	.section	.AMDGPU.csdata,"",@progbits
; Kernel info:
; codeLenInByte = 620
; NumSgprs: 26
; NumVgprs: 14
; NumAgprs: 0
; TotalNumVgprs: 14
; ScratchSize: 0
; MemoryBound: 0
; FloatMode: 240
; IeeeMode: 1
; LDSByteSize: 1 bytes/workgroup (compile time only)
; SGPRBlocks: 3
; VGPRBlocks: 1
; NumSGPRsForWavesPerEU: 26
; NumVGPRsForWavesPerEU: 14
; AccumOffset: 16
; Occupancy: 8
; WaveLimiterHint : 0
; COMPUTE_PGM_RSRC2:SCRATCH_EN: 0
; COMPUTE_PGM_RSRC2:USER_SGPR: 2
; COMPUTE_PGM_RSRC2:TRAP_HANDLER: 0
; COMPUTE_PGM_RSRC2:TGID_X_EN: 1
; COMPUTE_PGM_RSRC2:TGID_Y_EN: 0
; COMPUTE_PGM_RSRC2:TGID_Z_EN: 0
; COMPUTE_PGM_RSRC2:TIDIG_COMP_CNT: 0
; COMPUTE_PGM_RSRC3_GFX90A:ACCUM_OFFSET: 3
; COMPUTE_PGM_RSRC3_GFX90A:TG_SPLIT: 0
	.section	.text._Z6kernelI14inclusive_scanILN6hipcub18BlockScanAlgorithmE0EEhLj64ELj4ELj100EEvPKT0_PS4_S4_,"axG",@progbits,_Z6kernelI14inclusive_scanILN6hipcub18BlockScanAlgorithmE0EEhLj64ELj4ELj100EEvPKT0_PS4_S4_,comdat
	.protected	_Z6kernelI14inclusive_scanILN6hipcub18BlockScanAlgorithmE0EEhLj64ELj4ELj100EEvPKT0_PS4_S4_ ; -- Begin function _Z6kernelI14inclusive_scanILN6hipcub18BlockScanAlgorithmE0EEhLj64ELj4ELj100EEvPKT0_PS4_S4_
	.globl	_Z6kernelI14inclusive_scanILN6hipcub18BlockScanAlgorithmE0EEhLj64ELj4ELj100EEvPKT0_PS4_S4_
	.p2align	8
	.type	_Z6kernelI14inclusive_scanILN6hipcub18BlockScanAlgorithmE0EEhLj64ELj4ELj100EEvPKT0_PS4_S4_,@function
_Z6kernelI14inclusive_scanILN6hipcub18BlockScanAlgorithmE0EEhLj64ELj4ELj100EEvPKT0_PS4_S4_: ; @_Z6kernelI14inclusive_scanILN6hipcub18BlockScanAlgorithmE0EEhLj64ELj4ELj100EEvPKT0_PS4_S4_
; %bb.0:
	s_load_dword s3, s[0:1], 0x24
	s_load_dwordx4 s[12:15], s[0:1], 0x0
	v_mbcnt_lo_u32_b32 v4, -1, 0
	v_mbcnt_hi_u32_b32 v4, -1, v4
	v_and_b32_e32 v5, 15, v4
	s_waitcnt lgkmcnt(0)
	s_and_b32 s0, s3, 0xffff
	s_mul_i32 s2, s2, s0
	v_add_lshl_u32 v2, s2, v0, 2
	global_load_dword v1, v2, s[12:13]
	v_cmp_eq_u32_e32 vcc, 0, v5
	v_cmp_lt_u32_e64 s[0:1], 1, v5
	v_cmp_lt_u32_e64 s[2:3], 3, v5
	;; [unrolled: 1-line block ×3, first 2 shown]
	v_and_b32_e32 v5, 16, v4
	v_cmp_eq_u32_e64 s[6:7], 0, v5
	v_add_u32_e32 v5, -1, v4
	v_and_b32_e32 v6, 64, v4
	v_cmp_lt_i32_e64 s[12:13], v5, v6
	v_cmp_lt_u32_e64 s[8:9], 31, v4
	v_mov_b32_e32 v3, 0
	v_cndmask_b32_e64 v4, v5, v4, s[12:13]
	v_cmp_eq_u32_e64 s[10:11], 63, v0
	v_lshlrev_b32_e32 v4, 2, v4
	v_cmp_eq_u32_e64 s[12:13], 0, v0
	s_movk_i32 s18, 0x64
	s_branch .LBB74_2
.LBB74_1:                               ;   in Loop: Header=BB74_2 Depth=1
	s_or_b64 exec, exec, s[16:17]
	v_and_b32_e32 v5, 0xff, v5
	ds_bpermute_b32 v5, v4, v5
	s_add_i32 s18, s18, -1
	s_cmp_lg_u32 s18, 0
	s_waitcnt lgkmcnt(0)
	; wave barrier
	s_waitcnt lgkmcnt(0)
	v_cndmask_b32_e64 v5, v5, 0, s[12:13]
	v_add_u16_e32 v5, v5, v1
	v_add_u16_e32 v0, v5, v0
	v_add_u16_sdwa v6, v0, v1 dst_sel:DWORD dst_unused:UNUSED_PAD src0_sel:DWORD src1_sel:WORD_1
	v_add_u16_sdwa v1, v6, v1 dst_sel:DWORD dst_unused:UNUSED_PAD src0_sel:DWORD src1_sel:BYTE_3
	v_lshlrev_b16_e32 v0, 8, v0
	v_lshlrev_b16_e32 v1, 8, v1
	v_or_b32_sdwa v0, v5, v0 dst_sel:DWORD dst_unused:UNUSED_PAD src0_sel:BYTE_0 src1_sel:DWORD
	v_or_b32_sdwa v1, v6, v1 dst_sel:WORD_1 dst_unused:UNUSED_PAD src0_sel:BYTE_0 src1_sel:DWORD
	s_nop 0
	v_or_b32_sdwa v1, v0, v1 dst_sel:DWORD dst_unused:UNUSED_PAD src0_sel:WORD_0 src1_sel:DWORD
	s_cbranch_scc0 .LBB74_4
.LBB74_2:                               ; =>This Inner Loop Header: Depth=1
	s_waitcnt vmcnt(0)
	v_lshrrev_b32_e32 v0, 8, v1
	v_add_u16_e32 v5, v0, v1
	v_add_u16_sdwa v5, v5, v1 dst_sel:DWORD dst_unused:UNUSED_PAD src0_sel:DWORD src1_sel:WORD_1
	v_add_u16_sdwa v5, v5, v1 dst_sel:DWORD dst_unused:UNUSED_PAD src0_sel:DWORD src1_sel:BYTE_3
	v_and_b32_e32 v6, 0xff, v5
	s_nop 1
	v_mov_b32_dpp v6, v6 row_shr:1 row_mask:0xf bank_mask:0xf
	v_cndmask_b32_e64 v6, v6, 0, vcc
	v_add_u16_e32 v5, v5, v6
	v_and_b32_e32 v6, 0xff, v5
	s_nop 1
	v_mov_b32_dpp v6, v6 row_shr:2 row_mask:0xf bank_mask:0xf
	v_cndmask_b32_e64 v6, 0, v6, s[0:1]
	v_add_u16_e32 v5, v5, v6
	v_and_b32_e32 v6, 0xff, v5
	s_nop 1
	v_mov_b32_dpp v6, v6 row_shr:4 row_mask:0xf bank_mask:0xf
	v_cndmask_b32_e64 v6, 0, v6, s[2:3]
	;; [unrolled: 5-line block ×3, first 2 shown]
	v_add_u16_e32 v5, v5, v6
	v_and_b32_e32 v6, 0xff, v5
	s_nop 1
	v_mov_b32_dpp v6, v6 row_bcast:15 row_mask:0xf bank_mask:0xf
	v_cndmask_b32_e64 v6, v6, 0, s[6:7]
	v_add_u16_e32 v5, v5, v6
	v_and_b32_e32 v6, 0xff, v5
	s_nop 1
	v_mov_b32_dpp v6, v6 row_bcast:31 row_mask:0xf bank_mask:0xf
	v_cndmask_b32_e64 v6, 0, v6, s[8:9]
	v_add_u16_e32 v5, v5, v6
	s_and_saveexec_b64 s[16:17], s[10:11]
	s_cbranch_execz .LBB74_1
; %bb.3:                                ;   in Loop: Header=BB74_2 Depth=1
	ds_write_b8 v3, v5
	s_branch .LBB74_1
.LBB74_4:
	v_lshl_add_u64 v[2:3], s[14:15], 0, v[2:3]
	global_store_dword v[2:3], v1, off
	s_endpgm
	.section	.rodata,"a",@progbits
	.p2align	6, 0x0
	.amdhsa_kernel _Z6kernelI14inclusive_scanILN6hipcub18BlockScanAlgorithmE0EEhLj64ELj4ELj100EEvPKT0_PS4_S4_
		.amdhsa_group_segment_fixed_size 1
		.amdhsa_private_segment_fixed_size 0
		.amdhsa_kernarg_size 280
		.amdhsa_user_sgpr_count 2
		.amdhsa_user_sgpr_dispatch_ptr 0
		.amdhsa_user_sgpr_queue_ptr 0
		.amdhsa_user_sgpr_kernarg_segment_ptr 1
		.amdhsa_user_sgpr_dispatch_id 0
		.amdhsa_user_sgpr_kernarg_preload_length 0
		.amdhsa_user_sgpr_kernarg_preload_offset 0
		.amdhsa_user_sgpr_private_segment_size 0
		.amdhsa_uses_dynamic_stack 0
		.amdhsa_enable_private_segment 0
		.amdhsa_system_sgpr_workgroup_id_x 1
		.amdhsa_system_sgpr_workgroup_id_y 0
		.amdhsa_system_sgpr_workgroup_id_z 0
		.amdhsa_system_sgpr_workgroup_info 0
		.amdhsa_system_vgpr_workitem_id 0
		.amdhsa_next_free_vgpr 7
		.amdhsa_next_free_sgpr 19
		.amdhsa_accum_offset 8
		.amdhsa_reserve_vcc 1
		.amdhsa_float_round_mode_32 0
		.amdhsa_float_round_mode_16_64 0
		.amdhsa_float_denorm_mode_32 3
		.amdhsa_float_denorm_mode_16_64 3
		.amdhsa_dx10_clamp 1
		.amdhsa_ieee_mode 1
		.amdhsa_fp16_overflow 0
		.amdhsa_tg_split 0
		.amdhsa_exception_fp_ieee_invalid_op 0
		.amdhsa_exception_fp_denorm_src 0
		.amdhsa_exception_fp_ieee_div_zero 0
		.amdhsa_exception_fp_ieee_overflow 0
		.amdhsa_exception_fp_ieee_underflow 0
		.amdhsa_exception_fp_ieee_inexact 0
		.amdhsa_exception_int_div_zero 0
	.end_amdhsa_kernel
	.section	.text._Z6kernelI14inclusive_scanILN6hipcub18BlockScanAlgorithmE0EEhLj64ELj4ELj100EEvPKT0_PS4_S4_,"axG",@progbits,_Z6kernelI14inclusive_scanILN6hipcub18BlockScanAlgorithmE0EEhLj64ELj4ELj100EEvPKT0_PS4_S4_,comdat
.Lfunc_end74:
	.size	_Z6kernelI14inclusive_scanILN6hipcub18BlockScanAlgorithmE0EEhLj64ELj4ELj100EEvPKT0_PS4_S4_, .Lfunc_end74-_Z6kernelI14inclusive_scanILN6hipcub18BlockScanAlgorithmE0EEhLj64ELj4ELj100EEvPKT0_PS4_S4_
                                        ; -- End function
	.section	.AMDGPU.csdata,"",@progbits
; Kernel info:
; codeLenInByte = 540
; NumSgprs: 25
; NumVgprs: 7
; NumAgprs: 0
; TotalNumVgprs: 7
; ScratchSize: 0
; MemoryBound: 0
; FloatMode: 240
; IeeeMode: 1
; LDSByteSize: 1 bytes/workgroup (compile time only)
; SGPRBlocks: 3
; VGPRBlocks: 0
; NumSGPRsForWavesPerEU: 25
; NumVGPRsForWavesPerEU: 7
; AccumOffset: 8
; Occupancy: 8
; WaveLimiterHint : 0
; COMPUTE_PGM_RSRC2:SCRATCH_EN: 0
; COMPUTE_PGM_RSRC2:USER_SGPR: 2
; COMPUTE_PGM_RSRC2:TRAP_HANDLER: 0
; COMPUTE_PGM_RSRC2:TGID_X_EN: 1
; COMPUTE_PGM_RSRC2:TGID_Y_EN: 0
; COMPUTE_PGM_RSRC2:TGID_Z_EN: 0
; COMPUTE_PGM_RSRC2:TIDIG_COMP_CNT: 0
; COMPUTE_PGM_RSRC3_GFX90A:ACCUM_OFFSET: 1
; COMPUTE_PGM_RSRC3_GFX90A:TG_SPLIT: 0
	.section	.text._Z6kernelI14inclusive_scanILN6hipcub18BlockScanAlgorithmE0EEhLj64ELj8ELj100EEvPKT0_PS4_S4_,"axG",@progbits,_Z6kernelI14inclusive_scanILN6hipcub18BlockScanAlgorithmE0EEhLj64ELj8ELj100EEvPKT0_PS4_S4_,comdat
	.protected	_Z6kernelI14inclusive_scanILN6hipcub18BlockScanAlgorithmE0EEhLj64ELj8ELj100EEvPKT0_PS4_S4_ ; -- Begin function _Z6kernelI14inclusive_scanILN6hipcub18BlockScanAlgorithmE0EEhLj64ELj8ELj100EEvPKT0_PS4_S4_
	.globl	_Z6kernelI14inclusive_scanILN6hipcub18BlockScanAlgorithmE0EEhLj64ELj8ELj100EEvPKT0_PS4_S4_
	.p2align	8
	.type	_Z6kernelI14inclusive_scanILN6hipcub18BlockScanAlgorithmE0EEhLj64ELj8ELj100EEvPKT0_PS4_S4_,@function
_Z6kernelI14inclusive_scanILN6hipcub18BlockScanAlgorithmE0EEhLj64ELj8ELj100EEvPKT0_PS4_S4_: ; @_Z6kernelI14inclusive_scanILN6hipcub18BlockScanAlgorithmE0EEhLj64ELj8ELj100EEvPKT0_PS4_S4_
; %bb.0:
	s_load_dword s3, s[0:1], 0x24
	s_load_dwordx4 s[12:15], s[0:1], 0x0
	v_mbcnt_lo_u32_b32 v1, -1, 0
	v_mbcnt_hi_u32_b32 v1, -1, v1
	v_and_b32_e32 v6, 15, v1
	s_waitcnt lgkmcnt(0)
	s_and_b32 s0, s3, 0xffff
	s_mul_i32 s2, s2, s0
	v_add_lshl_u32 v2, s2, v0, 3
	global_load_dwordx2 v[4:5], v2, s[12:13]
	v_cmp_eq_u32_e32 vcc, 0, v6
	v_cmp_lt_u32_e64 s[0:1], 1, v6
	v_cmp_lt_u32_e64 s[2:3], 3, v6
	v_cmp_lt_u32_e64 s[4:5], 7, v6
	v_and_b32_e32 v6, 16, v1
	v_cmp_eq_u32_e64 s[6:7], 0, v6
	v_add_u32_e32 v6, -1, v1
	v_and_b32_e32 v7, 64, v1
	v_cmp_lt_i32_e64 s[12:13], v6, v7
	v_cmp_lt_u32_e64 s[8:9], 31, v1
	v_mov_b32_e32 v3, 0
	v_cndmask_b32_e64 v1, v6, v1, s[12:13]
	v_cmp_eq_u32_e64 s[10:11], 63, v0
	v_lshlrev_b32_e32 v1, 2, v1
	v_cmp_eq_u32_e64 s[12:13], 0, v0
	s_movk_i32 s18, 0x64
	s_branch .LBB75_2
.LBB75_1:                               ;   in Loop: Header=BB75_2 Depth=1
	s_or_b64 exec, exec, s[16:17]
	v_and_b32_e32 v7, 0xff, v7
	ds_bpermute_b32 v7, v1, v7
	s_add_i32 s18, s18, -1
	s_cmp_lg_u32 s18, 0
	s_waitcnt lgkmcnt(0)
	; wave barrier
	s_waitcnt lgkmcnt(0)
	v_cndmask_b32_e64 v7, v7, 0, s[12:13]
	v_add_u16_e32 v7, v7, v4
	v_add_u16_e32 v6, v7, v6
	v_add_u16_sdwa v8, v6, v4 dst_sel:DWORD dst_unused:UNUSED_PAD src0_sel:DWORD src1_sel:WORD_1
	v_lshlrev_b16_e32 v6, 8, v6
	v_add_u16_sdwa v4, v8, v4 dst_sel:DWORD dst_unused:UNUSED_PAD src0_sel:DWORD src1_sel:BYTE_3
	v_or_b32_sdwa v6, v7, v6 dst_sel:DWORD dst_unused:UNUSED_PAD src0_sel:BYTE_0 src1_sel:DWORD
	v_add_u16_e32 v7, v4, v5
	v_add_u16_e32 v0, v7, v0
	v_add_u16_sdwa v9, v0, v5 dst_sel:DWORD dst_unused:UNUSED_PAD src0_sel:DWORD src1_sel:WORD_1
	v_add_u16_sdwa v5, v9, v5 dst_sel:DWORD dst_unused:UNUSED_PAD src0_sel:DWORD src1_sel:BYTE_3
	v_lshlrev_b16_e32 v4, 8, v4
	v_lshlrev_b16_e32 v0, 8, v0
	;; [unrolled: 1-line block ×3, first 2 shown]
	v_or_b32_sdwa v4, v8, v4 dst_sel:WORD_1 dst_unused:UNUSED_PAD src0_sel:BYTE_0 src1_sel:DWORD
	v_or_b32_sdwa v0, v7, v0 dst_sel:DWORD dst_unused:UNUSED_PAD src0_sel:BYTE_0 src1_sel:DWORD
	v_or_b32_sdwa v5, v9, v5 dst_sel:WORD_1 dst_unused:UNUSED_PAD src0_sel:BYTE_0 src1_sel:DWORD
	v_or_b32_sdwa v4, v6, v4 dst_sel:DWORD dst_unused:UNUSED_PAD src0_sel:WORD_0 src1_sel:DWORD
	v_or_b32_sdwa v5, v0, v5 dst_sel:DWORD dst_unused:UNUSED_PAD src0_sel:WORD_0 src1_sel:DWORD
	s_cbranch_scc0 .LBB75_4
.LBB75_2:                               ; =>This Inner Loop Header: Depth=1
	s_waitcnt vmcnt(0)
	v_lshrrev_b32_e32 v6, 8, v4
	v_add_u16_e32 v7, v6, v4
	v_add_u16_sdwa v7, v7, v4 dst_sel:DWORD dst_unused:UNUSED_PAD src0_sel:DWORD src1_sel:WORD_1
	v_add_u16_sdwa v7, v7, v4 dst_sel:DWORD dst_unused:UNUSED_PAD src0_sel:DWORD src1_sel:BYTE_3
	v_lshrrev_b32_e32 v0, 8, v5
	v_add_u16_e32 v7, v7, v5
	v_add_u16_e32 v7, v7, v0
	v_add_u16_sdwa v7, v7, v5 dst_sel:DWORD dst_unused:UNUSED_PAD src0_sel:DWORD src1_sel:WORD_1
	v_add_u16_sdwa v7, v7, v5 dst_sel:DWORD dst_unused:UNUSED_PAD src0_sel:DWORD src1_sel:BYTE_3
	v_and_b32_e32 v8, 0xff, v7
	s_nop 1
	v_mov_b32_dpp v8, v8 row_shr:1 row_mask:0xf bank_mask:0xf
	v_cndmask_b32_e64 v8, v8, 0, vcc
	v_add_u16_e32 v7, v7, v8
	v_and_b32_e32 v8, 0xff, v7
	s_nop 1
	v_mov_b32_dpp v8, v8 row_shr:2 row_mask:0xf bank_mask:0xf
	v_cndmask_b32_e64 v8, 0, v8, s[0:1]
	v_add_u16_e32 v7, v7, v8
	v_and_b32_e32 v8, 0xff, v7
	s_nop 1
	v_mov_b32_dpp v8, v8 row_shr:4 row_mask:0xf bank_mask:0xf
	v_cndmask_b32_e64 v8, 0, v8, s[2:3]
	;; [unrolled: 5-line block ×3, first 2 shown]
	v_add_u16_e32 v7, v7, v8
	v_and_b32_e32 v8, 0xff, v7
	s_nop 1
	v_mov_b32_dpp v8, v8 row_bcast:15 row_mask:0xf bank_mask:0xf
	v_cndmask_b32_e64 v8, v8, 0, s[6:7]
	v_add_u16_e32 v7, v7, v8
	v_and_b32_e32 v8, 0xff, v7
	s_nop 1
	v_mov_b32_dpp v8, v8 row_bcast:31 row_mask:0xf bank_mask:0xf
	v_cndmask_b32_e64 v8, 0, v8, s[8:9]
	v_add_u16_e32 v7, v7, v8
	s_and_saveexec_b64 s[16:17], s[10:11]
	s_cbranch_execz .LBB75_1
; %bb.3:                                ;   in Loop: Header=BB75_2 Depth=1
	ds_write_b8 v3, v7
	s_branch .LBB75_1
.LBB75_4:
	v_lshl_add_u64 v[0:1], s[14:15], 0, v[2:3]
	global_store_dwordx2 v[0:1], v[4:5], off
	s_endpgm
	.section	.rodata,"a",@progbits
	.p2align	6, 0x0
	.amdhsa_kernel _Z6kernelI14inclusive_scanILN6hipcub18BlockScanAlgorithmE0EEhLj64ELj8ELj100EEvPKT0_PS4_S4_
		.amdhsa_group_segment_fixed_size 1
		.amdhsa_private_segment_fixed_size 0
		.amdhsa_kernarg_size 280
		.amdhsa_user_sgpr_count 2
		.amdhsa_user_sgpr_dispatch_ptr 0
		.amdhsa_user_sgpr_queue_ptr 0
		.amdhsa_user_sgpr_kernarg_segment_ptr 1
		.amdhsa_user_sgpr_dispatch_id 0
		.amdhsa_user_sgpr_kernarg_preload_length 0
		.amdhsa_user_sgpr_kernarg_preload_offset 0
		.amdhsa_user_sgpr_private_segment_size 0
		.amdhsa_uses_dynamic_stack 0
		.amdhsa_enable_private_segment 0
		.amdhsa_system_sgpr_workgroup_id_x 1
		.amdhsa_system_sgpr_workgroup_id_y 0
		.amdhsa_system_sgpr_workgroup_id_z 0
		.amdhsa_system_sgpr_workgroup_info 0
		.amdhsa_system_vgpr_workitem_id 0
		.amdhsa_next_free_vgpr 10
		.amdhsa_next_free_sgpr 19
		.amdhsa_accum_offset 12
		.amdhsa_reserve_vcc 1
		.amdhsa_float_round_mode_32 0
		.amdhsa_float_round_mode_16_64 0
		.amdhsa_float_denorm_mode_32 3
		.amdhsa_float_denorm_mode_16_64 3
		.amdhsa_dx10_clamp 1
		.amdhsa_ieee_mode 1
		.amdhsa_fp16_overflow 0
		.amdhsa_tg_split 0
		.amdhsa_exception_fp_ieee_invalid_op 0
		.amdhsa_exception_fp_denorm_src 0
		.amdhsa_exception_fp_ieee_div_zero 0
		.amdhsa_exception_fp_ieee_overflow 0
		.amdhsa_exception_fp_ieee_underflow 0
		.amdhsa_exception_fp_ieee_inexact 0
		.amdhsa_exception_int_div_zero 0
	.end_amdhsa_kernel
	.section	.text._Z6kernelI14inclusive_scanILN6hipcub18BlockScanAlgorithmE0EEhLj64ELj8ELj100EEvPKT0_PS4_S4_,"axG",@progbits,_Z6kernelI14inclusive_scanILN6hipcub18BlockScanAlgorithmE0EEhLj64ELj8ELj100EEvPKT0_PS4_S4_,comdat
.Lfunc_end75:
	.size	_Z6kernelI14inclusive_scanILN6hipcub18BlockScanAlgorithmE0EEhLj64ELj8ELj100EEvPKT0_PS4_S4_, .Lfunc_end75-_Z6kernelI14inclusive_scanILN6hipcub18BlockScanAlgorithmE0EEhLj64ELj8ELj100EEvPKT0_PS4_S4_
                                        ; -- End function
	.section	.AMDGPU.csdata,"",@progbits
; Kernel info:
; codeLenInByte = 620
; NumSgprs: 25
; NumVgprs: 10
; NumAgprs: 0
; TotalNumVgprs: 10
; ScratchSize: 0
; MemoryBound: 0
; FloatMode: 240
; IeeeMode: 1
; LDSByteSize: 1 bytes/workgroup (compile time only)
; SGPRBlocks: 3
; VGPRBlocks: 1
; NumSGPRsForWavesPerEU: 25
; NumVGPRsForWavesPerEU: 10
; AccumOffset: 12
; Occupancy: 8
; WaveLimiterHint : 0
; COMPUTE_PGM_RSRC2:SCRATCH_EN: 0
; COMPUTE_PGM_RSRC2:USER_SGPR: 2
; COMPUTE_PGM_RSRC2:TRAP_HANDLER: 0
; COMPUTE_PGM_RSRC2:TGID_X_EN: 1
; COMPUTE_PGM_RSRC2:TGID_Y_EN: 0
; COMPUTE_PGM_RSRC2:TGID_Z_EN: 0
; COMPUTE_PGM_RSRC2:TIDIG_COMP_CNT: 0
; COMPUTE_PGM_RSRC3_GFX90A:ACCUM_OFFSET: 2
; COMPUTE_PGM_RSRC3_GFX90A:TG_SPLIT: 0
	.section	.text._Z6kernelI14inclusive_scanILN6hipcub18BlockScanAlgorithmE0EEhLj64ELj11ELj100EEvPKT0_PS4_S4_,"axG",@progbits,_Z6kernelI14inclusive_scanILN6hipcub18BlockScanAlgorithmE0EEhLj64ELj11ELj100EEvPKT0_PS4_S4_,comdat
	.protected	_Z6kernelI14inclusive_scanILN6hipcub18BlockScanAlgorithmE0EEhLj64ELj11ELj100EEvPKT0_PS4_S4_ ; -- Begin function _Z6kernelI14inclusive_scanILN6hipcub18BlockScanAlgorithmE0EEhLj64ELj11ELj100EEvPKT0_PS4_S4_
	.globl	_Z6kernelI14inclusive_scanILN6hipcub18BlockScanAlgorithmE0EEhLj64ELj11ELj100EEvPKT0_PS4_S4_
	.p2align	8
	.type	_Z6kernelI14inclusive_scanILN6hipcub18BlockScanAlgorithmE0EEhLj64ELj11ELj100EEvPKT0_PS4_S4_,@function
_Z6kernelI14inclusive_scanILN6hipcub18BlockScanAlgorithmE0EEhLj64ELj11ELj100EEvPKT0_PS4_S4_: ; @_Z6kernelI14inclusive_scanILN6hipcub18BlockScanAlgorithmE0EEhLj64ELj11ELj100EEvPKT0_PS4_S4_
; %bb.0:
	s_load_dword s3, s[0:1], 0x24
	s_load_dwordx4 s[16:19], s[0:1], 0x0
	v_mbcnt_lo_u32_b32 v34, -1, 0
	v_mbcnt_hi_u32_b32 v34, -1, v34
	v_add_u32_e32 v36, -1, v34
	s_waitcnt lgkmcnt(0)
	s_and_b32 s0, s3, 0xffff
	s_mul_i32 s2, s2, s0
	v_add_u32_e32 v1, s2, v0
	v_mul_lo_u32 v2, v1, 11
	v_add_u32_e32 v6, 3, v2
	v_add_u32_e32 v4, 1, v2
	global_load_ubyte v26, v2, s[16:17]
	global_load_ubyte v27, v4, s[16:17]
	v_add_u32_e32 v8, 4, v2
	v_add_u32_e32 v10, 5, v2
	;; [unrolled: 1-line block ×4, first 2 shown]
	global_load_ubyte v28, v6, s[16:17]
	global_load_ubyte v29, v8, s[16:17]
	;; [unrolled: 1-line block ×5, first 2 shown]
	v_add_u32_e32 v22, 2, v2
	global_load_ubyte v33, v22, s[16:17]
	v_add_u32_e32 v16, 8, v2
	v_add_u32_e32 v18, 9, v2
	;; [unrolled: 1-line block ×3, first 2 shown]
	global_load_ubyte v24, v16, s[16:17]
	global_load_ubyte v1, v18, s[16:17]
	;; [unrolled: 1-line block ×3, first 2 shown]
	v_and_b32_e32 v37, 64, v34
	v_cmp_eq_u32_e32 vcc, 63, v0
	v_cmp_eq_u32_e64 s[0:1], 0, v0
	v_and_b32_e32 v0, 15, v34
	v_cmp_lt_i32_e64 s[14:15], v36, v37
	v_mov_b32_e32 v3, 0
	v_and_b32_e32 v35, 16, v34
	v_cmp_eq_u32_e64 s[4:5], 0, v0
	v_cmp_lt_u32_e64 s[6:7], 1, v0
	v_cmp_lt_u32_e64 s[8:9], 3, v0
	;; [unrolled: 1-line block ×3, first 2 shown]
	v_cndmask_b32_e64 v0, v36, v34, s[14:15]
	v_mov_b32_e32 v5, v3
	v_mov_b32_e32 v23, v3
	v_mov_b32_e32 v7, v3
	v_mov_b32_e32 v9, v3
	v_mov_b32_e32 v11, v3
	v_mov_b32_e32 v13, v3
	v_mov_b32_e32 v15, v3
	v_mov_b32_e32 v17, v3
	v_mov_b32_e32 v19, v3
	v_mov_b32_e32 v21, v3
	v_cmp_lt_u32_e64 s[2:3], 31, v34
	v_cmp_eq_u32_e64 s[12:13], 0, v35
	v_lshlrev_b32_e32 v0, 2, v0
	s_movk_i32 s16, 0x64
	s_waitcnt vmcnt(9)
	v_lshlrev_b16_e32 v27, 8, v27
	s_waitcnt vmcnt(8)
	v_lshlrev_b16_e32 v28, 8, v28
	v_or_b32_e32 v26, v26, v27
	s_waitcnt vmcnt(6)
	v_lshlrev_b16_e32 v30, 8, v30
	s_waitcnt vmcnt(4)
	v_lshlrev_b16_e32 v32, 8, v32
	s_waitcnt vmcnt(3)
	v_or_b32_sdwa v27, v33, v28 dst_sel:WORD_1 dst_unused:UNUSED_PAD src0_sel:DWORD src1_sel:DWORD
	v_or_b32_e32 v28, v29, v30
	v_or_b32_sdwa v29, v31, v32 dst_sel:WORD_1 dst_unused:UNUSED_PAD src0_sel:DWORD src1_sel:DWORD
	v_or_b32_sdwa v26, v26, v27 dst_sel:DWORD dst_unused:UNUSED_PAD src0_sel:WORD_0 src1_sel:DWORD
	v_or_b32_sdwa v27, v28, v29 dst_sel:DWORD dst_unused:UNUSED_PAD src0_sel:WORD_0 src1_sel:DWORD
	s_branch .LBB76_2
.LBB76_1:                               ;   in Loop: Header=BB76_2 Depth=1
	s_or_b64 exec, exec, s[14:15]
	v_and_b32_e32 v30, 0xff, v30
	ds_bpermute_b32 v30, v0, v30
	s_add_i32 s16, s16, -1
	s_cmp_lg_u32 s16, 0
	s_waitcnt lgkmcnt(0)
	; wave barrier
	s_waitcnt lgkmcnt(0)
	v_cndmask_b32_e64 v30, v30, 0, s[0:1]
	v_add_u16_e32 v31, v30, v26
	v_add_u16_e32 v30, v31, v29
	v_add_u16_sdwa v29, v30, v26 dst_sel:DWORD dst_unused:UNUSED_PAD src0_sel:DWORD src1_sel:WORD_1
	v_add_u16_sdwa v34, v29, v26 dst_sel:DWORD dst_unused:UNUSED_PAD src0_sel:DWORD src1_sel:BYTE_3
	v_add_u16_e32 v35, v34, v27
	v_lshlrev_b16_e32 v32, 8, v30
	v_add_u16_e32 v33, v35, v28
	v_or_b32_sdwa v26, v31, v32 dst_sel:DWORD dst_unused:UNUSED_PAD src0_sel:BYTE_0 src1_sel:DWORD
	v_add_u16_sdwa v32, v33, v27 dst_sel:DWORD dst_unused:UNUSED_PAD src0_sel:DWORD src1_sel:WORD_1
	v_add_u16_sdwa v28, v32, v27 dst_sel:DWORD dst_unused:UNUSED_PAD src0_sel:DWORD src1_sel:BYTE_3
	v_lshlrev_b16_e32 v27, 8, v34
	v_or_b32_sdwa v27, v29, v27 dst_sel:WORD_1 dst_unused:UNUSED_PAD src0_sel:BYTE_0 src1_sel:DWORD
	v_add_u16_e32 v24, v28, v24
	v_or_b32_sdwa v26, v26, v27 dst_sel:DWORD dst_unused:UNUSED_PAD src0_sel:WORD_0 src1_sel:DWORD
	v_lshlrev_b16_e32 v27, 8, v33
	v_lshlrev_b16_e32 v36, 8, v28
	v_add_u16_e32 v1, v24, v1
	v_or_b32_sdwa v27, v35, v27 dst_sel:DWORD dst_unused:UNUSED_PAD src0_sel:BYTE_0 src1_sel:DWORD
	v_or_b32_sdwa v36, v32, v36 dst_sel:WORD_1 dst_unused:UNUSED_PAD src0_sel:BYTE_0 src1_sel:DWORD
	v_add_u16_e32 v25, v1, v25
	v_or_b32_sdwa v27, v27, v36 dst_sel:DWORD dst_unused:UNUSED_PAD src0_sel:WORD_0 src1_sel:DWORD
	s_cbranch_scc0 .LBB76_4
.LBB76_2:                               ; =>This Inner Loop Header: Depth=1
	v_lshrrev_b32_e32 v29, 8, v26
	v_add_u16_e32 v30, v29, v26
	v_add_u16_sdwa v30, v30, v26 dst_sel:DWORD dst_unused:UNUSED_PAD src0_sel:DWORD src1_sel:WORD_1
	v_add_u16_sdwa v30, v30, v26 dst_sel:DWORD dst_unused:UNUSED_PAD src0_sel:DWORD src1_sel:BYTE_3
	v_lshrrev_b32_e32 v28, 8, v27
	v_add_u16_e32 v30, v30, v27
	v_add_u16_e32 v30, v30, v28
	v_add_u16_sdwa v30, v30, v27 dst_sel:DWORD dst_unused:UNUSED_PAD src0_sel:DWORD src1_sel:WORD_1
	v_add_u16_sdwa v30, v30, v27 dst_sel:DWORD dst_unused:UNUSED_PAD src0_sel:DWORD src1_sel:BYTE_3
	s_waitcnt vmcnt(2)
	v_add_u16_e32 v30, v30, v24
	s_waitcnt vmcnt(1)
	v_add_u16_e32 v30, v30, v1
	;; [unrolled: 2-line block ×3, first 2 shown]
	v_and_b32_e32 v31, 0xff, v30
	s_nop 1
	v_mov_b32_dpp v31, v31 row_shr:1 row_mask:0xf bank_mask:0xf
	v_cndmask_b32_e64 v31, v31, 0, s[4:5]
	v_add_u16_e32 v30, v30, v31
	v_and_b32_e32 v31, 0xff, v30
	s_nop 1
	v_mov_b32_dpp v31, v31 row_shr:2 row_mask:0xf bank_mask:0xf
	v_cndmask_b32_e64 v31, 0, v31, s[6:7]
	v_add_u16_e32 v30, v30, v31
	;; [unrolled: 5-line block ×4, first 2 shown]
	v_and_b32_e32 v31, 0xff, v30
	s_nop 1
	v_mov_b32_dpp v31, v31 row_bcast:15 row_mask:0xf bank_mask:0xf
	v_cndmask_b32_e64 v31, v31, 0, s[12:13]
	v_add_u16_e32 v30, v30, v31
	v_and_b32_e32 v31, 0xff, v30
	s_nop 1
	v_mov_b32_dpp v31, v31 row_bcast:31 row_mask:0xf bank_mask:0xf
	v_cndmask_b32_e64 v31, 0, v31, s[2:3]
	v_add_u16_e32 v30, v30, v31
	s_and_saveexec_b64 s[14:15], vcc
	s_cbranch_execz .LBB76_1
; %bb.3:                                ;   in Loop: Header=BB76_2 Depth=1
	ds_write_b8 v3, v30
	s_branch .LBB76_1
.LBB76_4:
	v_lshl_add_u64 v[2:3], s[18:19], 0, v[2:3]
	global_store_byte v[2:3], v31, off
	v_lshl_add_u64 v[2:3], s[18:19], 0, v[4:5]
	global_store_byte v[2:3], v30, off
	;; [unrolled: 2-line block ×11, first 2 shown]
	s_endpgm
	.section	.rodata,"a",@progbits
	.p2align	6, 0x0
	.amdhsa_kernel _Z6kernelI14inclusive_scanILN6hipcub18BlockScanAlgorithmE0EEhLj64ELj11ELj100EEvPKT0_PS4_S4_
		.amdhsa_group_segment_fixed_size 1
		.amdhsa_private_segment_fixed_size 0
		.amdhsa_kernarg_size 280
		.amdhsa_user_sgpr_count 2
		.amdhsa_user_sgpr_dispatch_ptr 0
		.amdhsa_user_sgpr_queue_ptr 0
		.amdhsa_user_sgpr_kernarg_segment_ptr 1
		.amdhsa_user_sgpr_dispatch_id 0
		.amdhsa_user_sgpr_kernarg_preload_length 0
		.amdhsa_user_sgpr_kernarg_preload_offset 0
		.amdhsa_user_sgpr_private_segment_size 0
		.amdhsa_uses_dynamic_stack 0
		.amdhsa_enable_private_segment 0
		.amdhsa_system_sgpr_workgroup_id_x 1
		.amdhsa_system_sgpr_workgroup_id_y 0
		.amdhsa_system_sgpr_workgroup_id_z 0
		.amdhsa_system_sgpr_workgroup_info 0
		.amdhsa_system_vgpr_workitem_id 0
		.amdhsa_next_free_vgpr 38
		.amdhsa_next_free_sgpr 20
		.amdhsa_accum_offset 40
		.amdhsa_reserve_vcc 1
		.amdhsa_float_round_mode_32 0
		.amdhsa_float_round_mode_16_64 0
		.amdhsa_float_denorm_mode_32 3
		.amdhsa_float_denorm_mode_16_64 3
		.amdhsa_dx10_clamp 1
		.amdhsa_ieee_mode 1
		.amdhsa_fp16_overflow 0
		.amdhsa_tg_split 0
		.amdhsa_exception_fp_ieee_invalid_op 0
		.amdhsa_exception_fp_denorm_src 0
		.amdhsa_exception_fp_ieee_div_zero 0
		.amdhsa_exception_fp_ieee_overflow 0
		.amdhsa_exception_fp_ieee_underflow 0
		.amdhsa_exception_fp_ieee_inexact 0
		.amdhsa_exception_int_div_zero 0
	.end_amdhsa_kernel
	.section	.text._Z6kernelI14inclusive_scanILN6hipcub18BlockScanAlgorithmE0EEhLj64ELj11ELj100EEvPKT0_PS4_S4_,"axG",@progbits,_Z6kernelI14inclusive_scanILN6hipcub18BlockScanAlgorithmE0EEhLj64ELj11ELj100EEvPKT0_PS4_S4_,comdat
.Lfunc_end76:
	.size	_Z6kernelI14inclusive_scanILN6hipcub18BlockScanAlgorithmE0EEhLj64ELj11ELj100EEvPKT0_PS4_S4_, .Lfunc_end76-_Z6kernelI14inclusive_scanILN6hipcub18BlockScanAlgorithmE0EEhLj64ELj11ELj100EEvPKT0_PS4_S4_
                                        ; -- End function
	.section	.AMDGPU.csdata,"",@progbits
; Kernel info:
; codeLenInByte = 1052
; NumSgprs: 26
; NumVgprs: 38
; NumAgprs: 0
; TotalNumVgprs: 38
; ScratchSize: 0
; MemoryBound: 0
; FloatMode: 240
; IeeeMode: 1
; LDSByteSize: 1 bytes/workgroup (compile time only)
; SGPRBlocks: 3
; VGPRBlocks: 4
; NumSGPRsForWavesPerEU: 26
; NumVGPRsForWavesPerEU: 38
; AccumOffset: 40
; Occupancy: 8
; WaveLimiterHint : 0
; COMPUTE_PGM_RSRC2:SCRATCH_EN: 0
; COMPUTE_PGM_RSRC2:USER_SGPR: 2
; COMPUTE_PGM_RSRC2:TRAP_HANDLER: 0
; COMPUTE_PGM_RSRC2:TGID_X_EN: 1
; COMPUTE_PGM_RSRC2:TGID_Y_EN: 0
; COMPUTE_PGM_RSRC2:TGID_Z_EN: 0
; COMPUTE_PGM_RSRC2:TIDIG_COMP_CNT: 0
; COMPUTE_PGM_RSRC3_GFX90A:ACCUM_OFFSET: 9
; COMPUTE_PGM_RSRC3_GFX90A:TG_SPLIT: 0
	.section	.text._Z6kernelI14inclusive_scanILN6hipcub18BlockScanAlgorithmE0EEhLj64ELj16ELj100EEvPKT0_PS4_S4_,"axG",@progbits,_Z6kernelI14inclusive_scanILN6hipcub18BlockScanAlgorithmE0EEhLj64ELj16ELj100EEvPKT0_PS4_S4_,comdat
	.protected	_Z6kernelI14inclusive_scanILN6hipcub18BlockScanAlgorithmE0EEhLj64ELj16ELj100EEvPKT0_PS4_S4_ ; -- Begin function _Z6kernelI14inclusive_scanILN6hipcub18BlockScanAlgorithmE0EEhLj64ELj16ELj100EEvPKT0_PS4_S4_
	.globl	_Z6kernelI14inclusive_scanILN6hipcub18BlockScanAlgorithmE0EEhLj64ELj16ELj100EEvPKT0_PS4_S4_
	.p2align	8
	.type	_Z6kernelI14inclusive_scanILN6hipcub18BlockScanAlgorithmE0EEhLj64ELj16ELj100EEvPKT0_PS4_S4_,@function
_Z6kernelI14inclusive_scanILN6hipcub18BlockScanAlgorithmE0EEhLj64ELj16ELj100EEvPKT0_PS4_S4_: ; @_Z6kernelI14inclusive_scanILN6hipcub18BlockScanAlgorithmE0EEhLj64ELj16ELj100EEvPKT0_PS4_S4_
; %bb.0:
	s_load_dword s3, s[0:1], 0x24
	s_load_dwordx4 s[12:15], s[0:1], 0x0
	v_mbcnt_lo_u32_b32 v1, -1, 0
	v_mbcnt_hi_u32_b32 v1, -1, v1
	v_and_b32_e32 v8, 15, v1
	s_waitcnt lgkmcnt(0)
	s_and_b32 s0, s3, 0xffff
	s_mul_i32 s2, s2, s0
	v_add_lshl_u32 v6, s2, v0, 4
	global_load_dwordx4 v[2:5], v6, s[12:13]
	v_cmp_eq_u32_e32 vcc, 0, v8
	v_cmp_lt_u32_e64 s[0:1], 1, v8
	v_cmp_lt_u32_e64 s[2:3], 3, v8
	;; [unrolled: 1-line block ×3, first 2 shown]
	v_and_b32_e32 v8, 16, v1
	v_cmp_eq_u32_e64 s[6:7], 0, v8
	v_add_u32_e32 v8, -1, v1
	v_and_b32_e32 v9, 64, v1
	v_cmp_lt_i32_e64 s[12:13], v8, v9
	v_cmp_lt_u32_e64 s[8:9], 31, v1
	v_mov_b32_e32 v7, 0
	v_cndmask_b32_e64 v1, v8, v1, s[12:13]
	v_cmp_eq_u32_e64 s[10:11], 63, v0
	v_lshlrev_b32_e32 v1, 2, v1
	v_cmp_eq_u32_e64 s[12:13], 0, v0
	s_movk_i32 s18, 0x64
	s_branch .LBB77_2
.LBB77_1:                               ;   in Loop: Header=BB77_2 Depth=1
	s_or_b64 exec, exec, s[16:17]
	v_and_b32_e32 v11, 0xff, v11
	ds_bpermute_b32 v11, v1, v11
	s_add_i32 s18, s18, -1
	s_cmp_lg_u32 s18, 0
	s_waitcnt lgkmcnt(0)
	; wave barrier
	s_waitcnt lgkmcnt(0)
	v_cndmask_b32_e64 v11, v11, 0, s[12:13]
	v_add_u16_e32 v11, v11, v2
	v_add_u16_e32 v10, v11, v10
	v_add_u16_sdwa v12, v10, v2 dst_sel:DWORD dst_unused:UNUSED_PAD src0_sel:DWORD src1_sel:WORD_1
	v_lshlrev_b16_e32 v10, 8, v10
	v_add_u16_sdwa v2, v12, v2 dst_sel:DWORD dst_unused:UNUSED_PAD src0_sel:DWORD src1_sel:BYTE_3
	v_or_b32_sdwa v10, v11, v10 dst_sel:DWORD dst_unused:UNUSED_PAD src0_sel:BYTE_0 src1_sel:DWORD
	v_add_u16_e32 v11, v2, v3
	v_add_u16_e32 v8, v11, v8
	v_add_u16_sdwa v13, v8, v3 dst_sel:DWORD dst_unused:UNUSED_PAD src0_sel:DWORD src1_sel:WORD_1
	v_add_u16_sdwa v3, v13, v3 dst_sel:DWORD dst_unused:UNUSED_PAD src0_sel:DWORD src1_sel:BYTE_3
	v_add_u16_e32 v14, v3, v4
	v_add_u16_e32 v15, v14, v9
	v_add_u16_sdwa v16, v15, v4 dst_sel:DWORD dst_unused:UNUSED_PAD src0_sel:DWORD src1_sel:WORD_1
	v_add_u16_sdwa v4, v16, v4 dst_sel:DWORD dst_unused:UNUSED_PAD src0_sel:DWORD src1_sel:BYTE_3
	;; [unrolled: 4-line block ×3, first 2 shown]
	v_lshlrev_b16_e32 v8, 8, v8
	v_lshlrev_b16_e32 v3, 8, v3
	;; [unrolled: 1-line block ×3, first 2 shown]
	v_or_b32_sdwa v8, v11, v8 dst_sel:DWORD dst_unused:UNUSED_PAD src0_sel:BYTE_0 src1_sel:DWORD
	v_or_b32_sdwa v9, v13, v3 dst_sel:WORD_1 dst_unused:UNUSED_PAD src0_sel:BYTE_0 src1_sel:DWORD
	v_lshlrev_b16_e32 v11, 8, v15
	v_lshlrev_b16_e32 v4, 8, v4
	;; [unrolled: 1-line block ×4, first 2 shown]
	v_or_b32_sdwa v0, v12, v0 dst_sel:WORD_1 dst_unused:UNUSED_PAD src0_sel:BYTE_0 src1_sel:DWORD
	v_or_b32_sdwa v11, v14, v11 dst_sel:DWORD dst_unused:UNUSED_PAD src0_sel:BYTE_0 src1_sel:DWORD
	v_or_b32_sdwa v12, v16, v4 dst_sel:WORD_1 dst_unused:UNUSED_PAD src0_sel:BYTE_0 src1_sel:DWORD
	v_or_b32_sdwa v13, v17, v13 dst_sel:DWORD dst_unused:UNUSED_PAD src0_sel:BYTE_0 src1_sel:DWORD
	v_or_b32_sdwa v14, v19, v5 dst_sel:WORD_1 dst_unused:UNUSED_PAD src0_sel:BYTE_0 src1_sel:DWORD
	v_or_b32_sdwa v2, v10, v0 dst_sel:DWORD dst_unused:UNUSED_PAD src0_sel:WORD_0 src1_sel:DWORD
	v_or_b32_sdwa v3, v8, v9 dst_sel:DWORD dst_unused:UNUSED_PAD src0_sel:WORD_0 src1_sel:DWORD
	;; [unrolled: 1-line block ×4, first 2 shown]
	s_cbranch_scc0 .LBB77_4
.LBB77_2:                               ; =>This Inner Loop Header: Depth=1
	s_waitcnt vmcnt(0)
	v_lshrrev_b32_e32 v10, 8, v2
	v_add_u16_e32 v9, v10, v2
	v_add_u16_sdwa v9, v9, v2 dst_sel:DWORD dst_unused:UNUSED_PAD src0_sel:DWORD src1_sel:WORD_1
	v_add_u16_sdwa v9, v9, v2 dst_sel:DWORD dst_unused:UNUSED_PAD src0_sel:DWORD src1_sel:BYTE_3
	v_lshrrev_b32_e32 v8, 8, v3
	v_add_u16_e32 v9, v9, v3
	v_add_u16_e32 v9, v9, v8
	v_add_u16_sdwa v9, v9, v3 dst_sel:DWORD dst_unused:UNUSED_PAD src0_sel:DWORD src1_sel:WORD_1
	v_add_u16_sdwa v9, v9, v3 dst_sel:DWORD dst_unused:UNUSED_PAD src0_sel:DWORD src1_sel:BYTE_3
	v_add_u16_e32 v11, v9, v4
	v_lshrrev_b32_e32 v9, 8, v4
	v_add_u16_e32 v11, v11, v9
	v_add_u16_sdwa v11, v11, v4 dst_sel:DWORD dst_unused:UNUSED_PAD src0_sel:DWORD src1_sel:WORD_1
	v_add_u16_sdwa v11, v11, v4 dst_sel:DWORD dst_unused:UNUSED_PAD src0_sel:DWORD src1_sel:BYTE_3
	v_lshrrev_b32_e32 v0, 8, v5
	v_add_u16_e32 v11, v11, v5
	v_add_u16_e32 v11, v11, v0
	v_add_u16_sdwa v11, v11, v5 dst_sel:DWORD dst_unused:UNUSED_PAD src0_sel:DWORD src1_sel:WORD_1
	v_add_u16_sdwa v11, v11, v5 dst_sel:DWORD dst_unused:UNUSED_PAD src0_sel:DWORD src1_sel:BYTE_3
	v_and_b32_e32 v12, 0xff, v11
	s_nop 1
	v_mov_b32_dpp v12, v12 row_shr:1 row_mask:0xf bank_mask:0xf
	v_cndmask_b32_e64 v12, v12, 0, vcc
	v_add_u16_e32 v11, v11, v12
	v_and_b32_e32 v12, 0xff, v11
	s_nop 1
	v_mov_b32_dpp v12, v12 row_shr:2 row_mask:0xf bank_mask:0xf
	v_cndmask_b32_e64 v12, 0, v12, s[0:1]
	v_add_u16_e32 v11, v11, v12
	v_and_b32_e32 v12, 0xff, v11
	s_nop 1
	v_mov_b32_dpp v12, v12 row_shr:4 row_mask:0xf bank_mask:0xf
	v_cndmask_b32_e64 v12, 0, v12, s[2:3]
	;; [unrolled: 5-line block ×3, first 2 shown]
	v_add_u16_e32 v11, v11, v12
	v_and_b32_e32 v12, 0xff, v11
	s_nop 1
	v_mov_b32_dpp v12, v12 row_bcast:15 row_mask:0xf bank_mask:0xf
	v_cndmask_b32_e64 v12, v12, 0, s[6:7]
	v_add_u16_e32 v11, v11, v12
	v_and_b32_e32 v12, 0xff, v11
	s_nop 1
	v_mov_b32_dpp v12, v12 row_bcast:31 row_mask:0xf bank_mask:0xf
	v_cndmask_b32_e64 v12, 0, v12, s[8:9]
	v_add_u16_e32 v11, v11, v12
	s_and_saveexec_b64 s[16:17], s[10:11]
	s_cbranch_execz .LBB77_1
; %bb.3:                                ;   in Loop: Header=BB77_2 Depth=1
	ds_write_b8 v7, v11
	s_branch .LBB77_1
.LBB77_4:
	v_lshl_add_u64 v[4:5], s[14:15], 0, v[6:7]
	v_or_b32_sdwa v3, v13, v14 dst_sel:DWORD dst_unused:UNUSED_PAD src0_sel:WORD_0 src1_sel:DWORD
	v_or_b32_sdwa v2, v11, v12 dst_sel:DWORD dst_unused:UNUSED_PAD src0_sel:WORD_0 src1_sel:DWORD
	;; [unrolled: 1-line block ×4, first 2 shown]
	global_store_dwordx4 v[4:5], v[0:3], off
	s_endpgm
	.section	.rodata,"a",@progbits
	.p2align	6, 0x0
	.amdhsa_kernel _Z6kernelI14inclusive_scanILN6hipcub18BlockScanAlgorithmE0EEhLj64ELj16ELj100EEvPKT0_PS4_S4_
		.amdhsa_group_segment_fixed_size 1
		.amdhsa_private_segment_fixed_size 0
		.amdhsa_kernarg_size 280
		.amdhsa_user_sgpr_count 2
		.amdhsa_user_sgpr_dispatch_ptr 0
		.amdhsa_user_sgpr_queue_ptr 0
		.amdhsa_user_sgpr_kernarg_segment_ptr 1
		.amdhsa_user_sgpr_dispatch_id 0
		.amdhsa_user_sgpr_kernarg_preload_length 0
		.amdhsa_user_sgpr_kernarg_preload_offset 0
		.amdhsa_user_sgpr_private_segment_size 0
		.amdhsa_uses_dynamic_stack 0
		.amdhsa_enable_private_segment 0
		.amdhsa_system_sgpr_workgroup_id_x 1
		.amdhsa_system_sgpr_workgroup_id_y 0
		.amdhsa_system_sgpr_workgroup_id_z 0
		.amdhsa_system_sgpr_workgroup_info 0
		.amdhsa_system_vgpr_workitem_id 0
		.amdhsa_next_free_vgpr 20
		.amdhsa_next_free_sgpr 19
		.amdhsa_accum_offset 20
		.amdhsa_reserve_vcc 1
		.amdhsa_float_round_mode_32 0
		.amdhsa_float_round_mode_16_64 0
		.amdhsa_float_denorm_mode_32 3
		.amdhsa_float_denorm_mode_16_64 3
		.amdhsa_dx10_clamp 1
		.amdhsa_ieee_mode 1
		.amdhsa_fp16_overflow 0
		.amdhsa_tg_split 0
		.amdhsa_exception_fp_ieee_invalid_op 0
		.amdhsa_exception_fp_denorm_src 0
		.amdhsa_exception_fp_ieee_div_zero 0
		.amdhsa_exception_fp_ieee_overflow 0
		.amdhsa_exception_fp_ieee_underflow 0
		.amdhsa_exception_fp_ieee_inexact 0
		.amdhsa_exception_int_div_zero 0
	.end_amdhsa_kernel
	.section	.text._Z6kernelI14inclusive_scanILN6hipcub18BlockScanAlgorithmE0EEhLj64ELj16ELj100EEvPKT0_PS4_S4_,"axG",@progbits,_Z6kernelI14inclusive_scanILN6hipcub18BlockScanAlgorithmE0EEhLj64ELj16ELj100EEvPKT0_PS4_S4_,comdat
.Lfunc_end77:
	.size	_Z6kernelI14inclusive_scanILN6hipcub18BlockScanAlgorithmE0EEhLj64ELj16ELj100EEvPKT0_PS4_S4_, .Lfunc_end77-_Z6kernelI14inclusive_scanILN6hipcub18BlockScanAlgorithmE0EEhLj64ELj16ELj100EEvPKT0_PS4_S4_
                                        ; -- End function
	.section	.AMDGPU.csdata,"",@progbits
; Kernel info:
; codeLenInByte = 820
; NumSgprs: 25
; NumVgprs: 20
; NumAgprs: 0
; TotalNumVgprs: 20
; ScratchSize: 0
; MemoryBound: 0
; FloatMode: 240
; IeeeMode: 1
; LDSByteSize: 1 bytes/workgroup (compile time only)
; SGPRBlocks: 3
; VGPRBlocks: 2
; NumSGPRsForWavesPerEU: 25
; NumVGPRsForWavesPerEU: 20
; AccumOffset: 20
; Occupancy: 8
; WaveLimiterHint : 0
; COMPUTE_PGM_RSRC2:SCRATCH_EN: 0
; COMPUTE_PGM_RSRC2:USER_SGPR: 2
; COMPUTE_PGM_RSRC2:TRAP_HANDLER: 0
; COMPUTE_PGM_RSRC2:TGID_X_EN: 1
; COMPUTE_PGM_RSRC2:TGID_Y_EN: 0
; COMPUTE_PGM_RSRC2:TGID_Z_EN: 0
; COMPUTE_PGM_RSRC2:TIDIG_COMP_CNT: 0
; COMPUTE_PGM_RSRC3_GFX90A:ACCUM_OFFSET: 4
; COMPUTE_PGM_RSRC3_GFX90A:TG_SPLIT: 0
	.section	.text._Z6kernelI14inclusive_scanILN6hipcub18BlockScanAlgorithmE0EEiLj256ELj1ELj100EEvPKT0_PS4_S4_,"axG",@progbits,_Z6kernelI14inclusive_scanILN6hipcub18BlockScanAlgorithmE0EEiLj256ELj1ELj100EEvPKT0_PS4_S4_,comdat
	.protected	_Z6kernelI14inclusive_scanILN6hipcub18BlockScanAlgorithmE0EEiLj256ELj1ELj100EEvPKT0_PS4_S4_ ; -- Begin function _Z6kernelI14inclusive_scanILN6hipcub18BlockScanAlgorithmE0EEiLj256ELj1ELj100EEvPKT0_PS4_S4_
	.globl	_Z6kernelI14inclusive_scanILN6hipcub18BlockScanAlgorithmE0EEiLj256ELj1ELj100EEvPKT0_PS4_S4_
	.p2align	8
	.type	_Z6kernelI14inclusive_scanILN6hipcub18BlockScanAlgorithmE0EEiLj256ELj1ELj100EEvPKT0_PS4_S4_,@function
_Z6kernelI14inclusive_scanILN6hipcub18BlockScanAlgorithmE0EEiLj256ELj1ELj100EEvPKT0_PS4_S4_: ; @_Z6kernelI14inclusive_scanILN6hipcub18BlockScanAlgorithmE0EEiLj256ELj1ELj100EEvPKT0_PS4_S4_
; %bb.0:
	s_load_dwordx4 s[20:23], s[0:1], 0x0
	s_load_dword s3, s[0:1], 0x24
	v_mov_b32_e32 v3, 0
	v_cmp_gt_u32_e64 s[12:13], 4, v0
	v_cmp_lt_u32_e64 s[14:15], 63, v0
	s_waitcnt lgkmcnt(0)
	v_mov_b32_e32 v4, s20
	s_and_b32 s0, s3, 0xffff
	s_mul_i32 s2, s2, s0
	v_mov_b32_e32 v5, s21
	v_add_u32_e32 v2, s2, v0
	v_lshl_add_u64 v[4:5], v[2:3], 2, v[4:5]
	global_load_dword v1, v[4:5], off
	v_mbcnt_lo_u32_b32 v4, -1, 0
	v_mbcnt_hi_u32_b32 v5, -1, v4
	v_and_b32_e32 v4, 15, v5
	v_cmp_eq_u32_e32 vcc, 0, v4
	v_cmp_lt_u32_e64 s[0:1], 1, v4
	v_cmp_lt_u32_e64 s[2:3], 3, v4
	;; [unrolled: 1-line block ×3, first 2 shown]
	v_and_b32_e32 v4, 16, v5
	v_cmp_eq_u32_e64 s[6:7], 0, v4
	v_or_b32_e32 v4, 63, v0
	v_cmp_eq_u32_e64 s[10:11], v4, v0
	v_lshrrev_b32_e32 v4, 4, v0
	v_cmp_lt_u32_e64 s[8:9], 31, v5
	v_and_b32_e32 v4, 12, v4
	v_and_b32_e32 v5, 3, v5
	v_lshlrev_b32_e32 v0, 2, v0
	v_cmp_eq_u32_e64 s[16:17], 0, v5
	v_cmp_lt_u32_e64 s[18:19], 1, v5
	v_add_u32_e32 v5, -4, v4
	s_movk_i32 s24, 0x64
	s_branch .LBB78_2
.LBB78_1:                               ;   in Loop: Header=BB78_2 Depth=1
	s_or_b64 exec, exec, s[20:21]
	s_add_i32 s24, s24, -1
	s_cmp_lg_u32 s24, 0
	s_cbranch_scc0 .LBB78_8
.LBB78_2:                               ; =>This Inner Loop Header: Depth=1
	s_waitcnt vmcnt(0)
	v_mov_b32_dpp v6, v1 row_shr:1 row_mask:0xf bank_mask:0xf
	v_cndmask_b32_e64 v6, v6, 0, vcc
	v_add_u32_e32 v1, v6, v1
	s_nop 1
	v_mov_b32_dpp v6, v1 row_shr:2 row_mask:0xf bank_mask:0xf
	v_cndmask_b32_e64 v6, 0, v6, s[0:1]
	v_add_u32_e32 v1, v1, v6
	s_nop 1
	v_mov_b32_dpp v6, v1 row_shr:4 row_mask:0xf bank_mask:0xf
	v_cndmask_b32_e64 v6, 0, v6, s[2:3]
	;; [unrolled: 4-line block ×3, first 2 shown]
	v_add_u32_e32 v1, v1, v6
	s_nop 1
	v_mov_b32_dpp v6, v1 row_bcast:15 row_mask:0xf bank_mask:0xf
	v_cndmask_b32_e64 v6, v6, 0, s[6:7]
	v_add_u32_e32 v1, v1, v6
	s_nop 1
	v_mov_b32_dpp v6, v1 row_bcast:31 row_mask:0xf bank_mask:0xf
	v_cndmask_b32_e64 v6, 0, v6, s[8:9]
	v_add_u32_e32 v1, v1, v6
	s_and_saveexec_b64 s[20:21], s[10:11]
	s_cbranch_execz .LBB78_4
; %bb.3:                                ;   in Loop: Header=BB78_2 Depth=1
	ds_write_b32 v4, v1
.LBB78_4:                               ;   in Loop: Header=BB78_2 Depth=1
	s_or_b64 exec, exec, s[20:21]
	s_waitcnt lgkmcnt(0)
	s_barrier
	s_and_saveexec_b64 s[20:21], s[12:13]
	s_cbranch_execz .LBB78_6
; %bb.5:                                ;   in Loop: Header=BB78_2 Depth=1
	ds_read_b32 v6, v0
	s_waitcnt lgkmcnt(0)
	s_nop 0
	v_mov_b32_dpp v7, v6 row_shr:1 row_mask:0xf bank_mask:0xf
	v_cndmask_b32_e64 v7, v7, 0, s[16:17]
	v_add_u32_e32 v6, v7, v6
	s_nop 1
	v_mov_b32_dpp v7, v6 row_shr:2 row_mask:0xf bank_mask:0xf
	v_cndmask_b32_e64 v7, 0, v7, s[18:19]
	v_add_u32_e32 v6, v6, v7
	ds_write_b32 v0, v6
.LBB78_6:                               ;   in Loop: Header=BB78_2 Depth=1
	s_or_b64 exec, exec, s[20:21]
	s_waitcnt lgkmcnt(0)
	s_barrier
	s_and_saveexec_b64 s[20:21], s[14:15]
	s_cbranch_execz .LBB78_1
; %bb.7:                                ;   in Loop: Header=BB78_2 Depth=1
	ds_read_b32 v6, v5
	s_waitcnt lgkmcnt(0)
	v_add_u32_e32 v1, v6, v1
	s_branch .LBB78_1
.LBB78_8:
	v_mov_b32_e32 v4, s22
	v_mov_b32_e32 v5, s23
	v_lshl_add_u64 v[2:3], v[2:3], 2, v[4:5]
	global_store_dword v[2:3], v1, off
	s_endpgm
	.section	.rodata,"a",@progbits
	.p2align	6, 0x0
	.amdhsa_kernel _Z6kernelI14inclusive_scanILN6hipcub18BlockScanAlgorithmE0EEiLj256ELj1ELj100EEvPKT0_PS4_S4_
		.amdhsa_group_segment_fixed_size 16
		.amdhsa_private_segment_fixed_size 0
		.amdhsa_kernarg_size 280
		.amdhsa_user_sgpr_count 2
		.amdhsa_user_sgpr_dispatch_ptr 0
		.amdhsa_user_sgpr_queue_ptr 0
		.amdhsa_user_sgpr_kernarg_segment_ptr 1
		.amdhsa_user_sgpr_dispatch_id 0
		.amdhsa_user_sgpr_kernarg_preload_length 0
		.amdhsa_user_sgpr_kernarg_preload_offset 0
		.amdhsa_user_sgpr_private_segment_size 0
		.amdhsa_uses_dynamic_stack 0
		.amdhsa_enable_private_segment 0
		.amdhsa_system_sgpr_workgroup_id_x 1
		.amdhsa_system_sgpr_workgroup_id_y 0
		.amdhsa_system_sgpr_workgroup_id_z 0
		.amdhsa_system_sgpr_workgroup_info 0
		.amdhsa_system_vgpr_workitem_id 0
		.amdhsa_next_free_vgpr 8
		.amdhsa_next_free_sgpr 25
		.amdhsa_accum_offset 8
		.amdhsa_reserve_vcc 1
		.amdhsa_float_round_mode_32 0
		.amdhsa_float_round_mode_16_64 0
		.amdhsa_float_denorm_mode_32 3
		.amdhsa_float_denorm_mode_16_64 3
		.amdhsa_dx10_clamp 1
		.amdhsa_ieee_mode 1
		.amdhsa_fp16_overflow 0
		.amdhsa_tg_split 0
		.amdhsa_exception_fp_ieee_invalid_op 0
		.amdhsa_exception_fp_denorm_src 0
		.amdhsa_exception_fp_ieee_div_zero 0
		.amdhsa_exception_fp_ieee_overflow 0
		.amdhsa_exception_fp_ieee_underflow 0
		.amdhsa_exception_fp_ieee_inexact 0
		.amdhsa_exception_int_div_zero 0
	.end_amdhsa_kernel
	.section	.text._Z6kernelI14inclusive_scanILN6hipcub18BlockScanAlgorithmE0EEiLj256ELj1ELj100EEvPKT0_PS4_S4_,"axG",@progbits,_Z6kernelI14inclusive_scanILN6hipcub18BlockScanAlgorithmE0EEiLj256ELj1ELj100EEvPKT0_PS4_S4_,comdat
.Lfunc_end78:
	.size	_Z6kernelI14inclusive_scanILN6hipcub18BlockScanAlgorithmE0EEiLj256ELj1ELj100EEvPKT0_PS4_S4_, .Lfunc_end78-_Z6kernelI14inclusive_scanILN6hipcub18BlockScanAlgorithmE0EEiLj256ELj1ELj100EEvPKT0_PS4_S4_
                                        ; -- End function
	.section	.AMDGPU.csdata,"",@progbits
; Kernel info:
; codeLenInByte = 536
; NumSgprs: 31
; NumVgprs: 8
; NumAgprs: 0
; TotalNumVgprs: 8
; ScratchSize: 0
; MemoryBound: 0
; FloatMode: 240
; IeeeMode: 1
; LDSByteSize: 16 bytes/workgroup (compile time only)
; SGPRBlocks: 3
; VGPRBlocks: 0
; NumSGPRsForWavesPerEU: 31
; NumVGPRsForWavesPerEU: 8
; AccumOffset: 8
; Occupancy: 8
; WaveLimiterHint : 0
; COMPUTE_PGM_RSRC2:SCRATCH_EN: 0
; COMPUTE_PGM_RSRC2:USER_SGPR: 2
; COMPUTE_PGM_RSRC2:TRAP_HANDLER: 0
; COMPUTE_PGM_RSRC2:TGID_X_EN: 1
; COMPUTE_PGM_RSRC2:TGID_Y_EN: 0
; COMPUTE_PGM_RSRC2:TGID_Z_EN: 0
; COMPUTE_PGM_RSRC2:TIDIG_COMP_CNT: 0
; COMPUTE_PGM_RSRC3_GFX90A:ACCUM_OFFSET: 1
; COMPUTE_PGM_RSRC3_GFX90A:TG_SPLIT: 0
	.section	.text._Z6kernelI14inclusive_scanILN6hipcub18BlockScanAlgorithmE0EEiLj256ELj3ELj100EEvPKT0_PS4_S4_,"axG",@progbits,_Z6kernelI14inclusive_scanILN6hipcub18BlockScanAlgorithmE0EEiLj256ELj3ELj100EEvPKT0_PS4_S4_,comdat
	.protected	_Z6kernelI14inclusive_scanILN6hipcub18BlockScanAlgorithmE0EEiLj256ELj3ELj100EEvPKT0_PS4_S4_ ; -- Begin function _Z6kernelI14inclusive_scanILN6hipcub18BlockScanAlgorithmE0EEiLj256ELj3ELj100EEvPKT0_PS4_S4_
	.globl	_Z6kernelI14inclusive_scanILN6hipcub18BlockScanAlgorithmE0EEiLj256ELj3ELj100EEvPKT0_PS4_S4_
	.p2align	8
	.type	_Z6kernelI14inclusive_scanILN6hipcub18BlockScanAlgorithmE0EEiLj256ELj3ELj100EEvPKT0_PS4_S4_,@function
_Z6kernelI14inclusive_scanILN6hipcub18BlockScanAlgorithmE0EEiLj256ELj3ELj100EEvPKT0_PS4_S4_: ; @_Z6kernelI14inclusive_scanILN6hipcub18BlockScanAlgorithmE0EEiLj256ELj3ELj100EEvPKT0_PS4_S4_
; %bb.0:
	s_load_dword s3, s[0:1], 0x24
	s_load_dwordx4 s[24:27], s[0:1], 0x0
	v_mov_b32_e32 v3, 0
	v_mov_b32_e32 v5, v3
	;; [unrolled: 1-line block ×3, first 2 shown]
	s_waitcnt lgkmcnt(0)
	s_and_b32 s0, s3, 0xffff
	s_mul_i32 s2, s2, s0
	v_add_u32_e32 v1, s2, v0
	v_lshl_add_u32 v2, v1, 1, v1
	v_lshl_add_u64 v[10:11], v[2:3], 2, s[24:25]
	v_add_u32_e32 v4, 1, v2
	v_add_u32_e32 v6, 2, v2
	v_lshl_add_u64 v[12:13], v[4:5], 2, s[24:25]
	v_lshl_add_u64 v[14:15], v[6:7], 2, s[24:25]
	global_load_dword v9, v[10:11], off
	global_load_dword v8, v[12:13], off
	global_load_dword v1, v[14:15], off
	v_mbcnt_lo_u32_b32 v10, -1, 0
	v_mbcnt_hi_u32_b32 v12, -1, v10
	v_and_b32_e32 v10, 15, v12
	v_cmp_eq_u32_e32 vcc, 0, v10
	v_cmp_lt_u32_e64 s[0:1], 1, v10
	v_cmp_lt_u32_e64 s[2:3], 3, v10
	v_cmp_lt_u32_e64 s[4:5], 7, v10
	v_and_b32_e32 v10, 16, v12
	v_cmp_eq_u32_e64 s[6:7], 0, v10
	v_or_b32_e32 v10, 63, v0
	v_cmp_eq_u32_e64 s[10:11], v10, v0
	v_add_u32_e32 v10, -1, v12
	v_and_b32_e32 v11, 64, v12
	v_cmp_lt_i32_e64 s[16:17], v10, v11
	v_lshrrev_b32_e32 v11, 4, v0
	v_cmp_lt_u32_e64 s[8:9], 31, v12
	v_cndmask_b32_e64 v10, v10, v12, s[16:17]
	v_cmp_eq_u32_e64 s[18:19], 0, v12
	v_and_b32_e32 v11, 12, v11
	v_and_b32_e32 v12, 3, v12
	v_cmp_gt_u32_e64 s[12:13], 4, v0
	v_cmp_lt_u32_e64 s[14:15], 63, v0
	v_lshlrev_b32_e32 v10, 2, v10
	v_cmp_eq_u32_e64 s[16:17], 0, v0
	v_lshlrev_b32_e32 v0, 2, v0
	v_cmp_eq_u32_e64 s[20:21], 0, v12
	v_cmp_lt_u32_e64 s[22:23], 1, v12
	v_add_u32_e32 v12, -4, v11
	s_movk_i32 s28, 0x64
	s_branch .LBB79_2
.LBB79_1:                               ;   in Loop: Header=BB79_2 Depth=1
	s_or_b64 exec, exec, s[24:25]
	ds_bpermute_b32 v13, v10, v13
	s_add_i32 s28, s28, -1
	s_cmp_lg_u32 s28, 0
	s_waitcnt lgkmcnt(0)
	v_cndmask_b32_e64 v13, v13, v14, s[18:19]
	v_cndmask_b32_e64 v13, v13, 0, s[16:17]
	v_add_u32_e32 v9, v13, v9
	v_add_u32_e32 v8, v9, v8
	;; [unrolled: 1-line block ×3, first 2 shown]
	s_cbranch_scc0 .LBB79_8
.LBB79_2:                               ; =>This Inner Loop Header: Depth=1
	s_waitcnt vmcnt(0)
	v_add3_u32 v13, v8, v9, v1
	s_nop 1
	v_mov_b32_dpp v14, v13 row_shr:1 row_mask:0xf bank_mask:0xf
	v_cndmask_b32_e64 v14, v14, 0, vcc
	v_add_u32_e32 v13, v13, v14
	s_nop 1
	v_mov_b32_dpp v14, v13 row_shr:2 row_mask:0xf bank_mask:0xf
	v_cndmask_b32_e64 v14, 0, v14, s[0:1]
	v_add_u32_e32 v13, v13, v14
	s_nop 1
	v_mov_b32_dpp v14, v13 row_shr:4 row_mask:0xf bank_mask:0xf
	v_cndmask_b32_e64 v14, 0, v14, s[2:3]
	;; [unrolled: 4-line block ×3, first 2 shown]
	v_add_u32_e32 v13, v13, v14
	s_nop 1
	v_mov_b32_dpp v14, v13 row_bcast:15 row_mask:0xf bank_mask:0xf
	v_cndmask_b32_e64 v14, v14, 0, s[6:7]
	v_add_u32_e32 v13, v13, v14
	s_nop 1
	v_mov_b32_dpp v14, v13 row_bcast:31 row_mask:0xf bank_mask:0xf
	v_cndmask_b32_e64 v14, 0, v14, s[8:9]
	v_add_u32_e32 v13, v13, v14
	s_and_saveexec_b64 s[24:25], s[10:11]
	s_cbranch_execz .LBB79_4
; %bb.3:                                ;   in Loop: Header=BB79_2 Depth=1
	ds_write_b32 v11, v13
.LBB79_4:                               ;   in Loop: Header=BB79_2 Depth=1
	s_or_b64 exec, exec, s[24:25]
	s_waitcnt lgkmcnt(0)
	s_barrier
	s_and_saveexec_b64 s[24:25], s[12:13]
	s_cbranch_execz .LBB79_6
; %bb.5:                                ;   in Loop: Header=BB79_2 Depth=1
	ds_read_b32 v14, v0
	s_waitcnt lgkmcnt(0)
	s_nop 0
	v_mov_b32_dpp v15, v14 row_shr:1 row_mask:0xf bank_mask:0xf
	v_cndmask_b32_e64 v15, v15, 0, s[20:21]
	v_add_u32_e32 v14, v15, v14
	s_nop 1
	v_mov_b32_dpp v15, v14 row_shr:2 row_mask:0xf bank_mask:0xf
	v_cndmask_b32_e64 v15, 0, v15, s[22:23]
	v_add_u32_e32 v14, v14, v15
	ds_write_b32 v0, v14
.LBB79_6:                               ;   in Loop: Header=BB79_2 Depth=1
	s_or_b64 exec, exec, s[24:25]
	s_waitcnt lgkmcnt(0)
	s_barrier
	s_waitcnt lgkmcnt(0)
                                        ; implicit-def: $vgpr14
	s_and_saveexec_b64 s[24:25], s[14:15]
	s_cbranch_execz .LBB79_1
; %bb.7:                                ;   in Loop: Header=BB79_2 Depth=1
	ds_read_b32 v14, v12
	s_waitcnt lgkmcnt(0)
	v_add_u32_e32 v13, v14, v13
	s_branch .LBB79_1
.LBB79_8:
	v_lshl_add_u64 v[2:3], v[2:3], 2, s[26:27]
	global_store_dword v[2:3], v9, off
	v_lshl_add_u64 v[2:3], v[4:5], 2, s[26:27]
	global_store_dword v[2:3], v8, off
	;; [unrolled: 2-line block ×3, first 2 shown]
	s_endpgm
	.section	.rodata,"a",@progbits
	.p2align	6, 0x0
	.amdhsa_kernel _Z6kernelI14inclusive_scanILN6hipcub18BlockScanAlgorithmE0EEiLj256ELj3ELj100EEvPKT0_PS4_S4_
		.amdhsa_group_segment_fixed_size 16
		.amdhsa_private_segment_fixed_size 0
		.amdhsa_kernarg_size 280
		.amdhsa_user_sgpr_count 2
		.amdhsa_user_sgpr_dispatch_ptr 0
		.amdhsa_user_sgpr_queue_ptr 0
		.amdhsa_user_sgpr_kernarg_segment_ptr 1
		.amdhsa_user_sgpr_dispatch_id 0
		.amdhsa_user_sgpr_kernarg_preload_length 0
		.amdhsa_user_sgpr_kernarg_preload_offset 0
		.amdhsa_user_sgpr_private_segment_size 0
		.amdhsa_uses_dynamic_stack 0
		.amdhsa_enable_private_segment 0
		.amdhsa_system_sgpr_workgroup_id_x 1
		.amdhsa_system_sgpr_workgroup_id_y 0
		.amdhsa_system_sgpr_workgroup_id_z 0
		.amdhsa_system_sgpr_workgroup_info 0
		.amdhsa_system_vgpr_workitem_id 0
		.amdhsa_next_free_vgpr 16
		.amdhsa_next_free_sgpr 29
		.amdhsa_accum_offset 16
		.amdhsa_reserve_vcc 1
		.amdhsa_float_round_mode_32 0
		.amdhsa_float_round_mode_16_64 0
		.amdhsa_float_denorm_mode_32 3
		.amdhsa_float_denorm_mode_16_64 3
		.amdhsa_dx10_clamp 1
		.amdhsa_ieee_mode 1
		.amdhsa_fp16_overflow 0
		.amdhsa_tg_split 0
		.amdhsa_exception_fp_ieee_invalid_op 0
		.amdhsa_exception_fp_denorm_src 0
		.amdhsa_exception_fp_ieee_div_zero 0
		.amdhsa_exception_fp_ieee_overflow 0
		.amdhsa_exception_fp_ieee_underflow 0
		.amdhsa_exception_fp_ieee_inexact 0
		.amdhsa_exception_int_div_zero 0
	.end_amdhsa_kernel
	.section	.text._Z6kernelI14inclusive_scanILN6hipcub18BlockScanAlgorithmE0EEiLj256ELj3ELj100EEvPKT0_PS4_S4_,"axG",@progbits,_Z6kernelI14inclusive_scanILN6hipcub18BlockScanAlgorithmE0EEiLj256ELj3ELj100EEvPKT0_PS4_S4_,comdat
.Lfunc_end79:
	.size	_Z6kernelI14inclusive_scanILN6hipcub18BlockScanAlgorithmE0EEiLj256ELj3ELj100EEvPKT0_PS4_S4_, .Lfunc_end79-_Z6kernelI14inclusive_scanILN6hipcub18BlockScanAlgorithmE0EEiLj256ELj3ELj100EEvPKT0_PS4_S4_
                                        ; -- End function
	.section	.AMDGPU.csdata,"",@progbits
; Kernel info:
; codeLenInByte = 708
; NumSgprs: 35
; NumVgprs: 16
; NumAgprs: 0
; TotalNumVgprs: 16
; ScratchSize: 0
; MemoryBound: 0
; FloatMode: 240
; IeeeMode: 1
; LDSByteSize: 16 bytes/workgroup (compile time only)
; SGPRBlocks: 4
; VGPRBlocks: 1
; NumSGPRsForWavesPerEU: 35
; NumVGPRsForWavesPerEU: 16
; AccumOffset: 16
; Occupancy: 8
; WaveLimiterHint : 0
; COMPUTE_PGM_RSRC2:SCRATCH_EN: 0
; COMPUTE_PGM_RSRC2:USER_SGPR: 2
; COMPUTE_PGM_RSRC2:TRAP_HANDLER: 0
; COMPUTE_PGM_RSRC2:TGID_X_EN: 1
; COMPUTE_PGM_RSRC2:TGID_Y_EN: 0
; COMPUTE_PGM_RSRC2:TGID_Z_EN: 0
; COMPUTE_PGM_RSRC2:TIDIG_COMP_CNT: 0
; COMPUTE_PGM_RSRC3_GFX90A:ACCUM_OFFSET: 3
; COMPUTE_PGM_RSRC3_GFX90A:TG_SPLIT: 0
	.section	.text._Z6kernelI14inclusive_scanILN6hipcub18BlockScanAlgorithmE0EEiLj256ELj4ELj100EEvPKT0_PS4_S4_,"axG",@progbits,_Z6kernelI14inclusive_scanILN6hipcub18BlockScanAlgorithmE0EEiLj256ELj4ELj100EEvPKT0_PS4_S4_,comdat
	.protected	_Z6kernelI14inclusive_scanILN6hipcub18BlockScanAlgorithmE0EEiLj256ELj4ELj100EEvPKT0_PS4_S4_ ; -- Begin function _Z6kernelI14inclusive_scanILN6hipcub18BlockScanAlgorithmE0EEiLj256ELj4ELj100EEvPKT0_PS4_S4_
	.globl	_Z6kernelI14inclusive_scanILN6hipcub18BlockScanAlgorithmE0EEiLj256ELj4ELj100EEvPKT0_PS4_S4_
	.p2align	8
	.type	_Z6kernelI14inclusive_scanILN6hipcub18BlockScanAlgorithmE0EEiLj256ELj4ELj100EEvPKT0_PS4_S4_,@function
_Z6kernelI14inclusive_scanILN6hipcub18BlockScanAlgorithmE0EEiLj256ELj4ELj100EEvPKT0_PS4_S4_: ; @_Z6kernelI14inclusive_scanILN6hipcub18BlockScanAlgorithmE0EEiLj256ELj4ELj100EEvPKT0_PS4_S4_
; %bb.0:
	s_load_dwordx4 s[24:27], s[0:1], 0x0
	s_load_dword s3, s[0:1], 0x24
	v_mov_b32_e32 v7, 0
	v_mbcnt_lo_u32_b32 v1, -1, 0
	v_mbcnt_hi_u32_b32 v9, -1, v1
	s_waitcnt lgkmcnt(0)
	v_mov_b32_e32 v2, s24
	s_and_b32 s0, s3, 0xffff
	s_mul_i32 s2, s2, s0
	v_mov_b32_e32 v3, s25
	v_add_lshl_u32 v6, s2, v0, 2
	v_lshl_add_u64 v[2:3], v[6:7], 2, v[2:3]
	global_load_dwordx4 v[2:5], v[2:3], off
	v_and_b32_e32 v1, 15, v9
	v_cmp_eq_u32_e32 vcc, 0, v1
	v_cmp_lt_u32_e64 s[0:1], 1, v1
	v_cmp_lt_u32_e64 s[2:3], 3, v1
	;; [unrolled: 1-line block ×3, first 2 shown]
	v_and_b32_e32 v1, 16, v9
	v_cmp_eq_u32_e64 s[6:7], 0, v1
	v_or_b32_e32 v1, 63, v0
	v_cmp_eq_u32_e64 s[10:11], v1, v0
	v_add_u32_e32 v1, -1, v9
	v_and_b32_e32 v8, 64, v9
	v_cmp_lt_i32_e64 s[16:17], v1, v8
	v_lshrrev_b32_e32 v8, 4, v0
	v_cmp_lt_u32_e64 s[8:9], 31, v9
	v_cndmask_b32_e64 v1, v1, v9, s[16:17]
	v_cmp_eq_u32_e64 s[18:19], 0, v9
	v_and_b32_e32 v8, 12, v8
	v_and_b32_e32 v9, 3, v9
	v_cmp_gt_u32_e64 s[12:13], 4, v0
	v_cmp_lt_u32_e64 s[14:15], 63, v0
	v_lshlrev_b32_e32 v1, 2, v1
	v_cmp_eq_u32_e64 s[16:17], 0, v0
	v_lshlrev_b32_e32 v0, 2, v0
	v_cmp_eq_u32_e64 s[20:21], 0, v9
	v_cmp_lt_u32_e64 s[22:23], 1, v9
	v_add_u32_e32 v9, -4, v8
	s_movk_i32 s28, 0x64
	s_branch .LBB80_2
.LBB80_1:                               ;   in Loop: Header=BB80_2 Depth=1
	s_or_b64 exec, exec, s[24:25]
	ds_bpermute_b32 v10, v1, v10
	s_add_i32 s28, s28, -1
	s_cmp_lg_u32 s28, 0
	s_waitcnt lgkmcnt(0)
	v_cndmask_b32_e64 v10, v10, v11, s[18:19]
	v_cndmask_b32_e64 v10, v10, 0, s[16:17]
	v_add_u32_e32 v2, v10, v2
	v_add_u32_e32 v3, v2, v3
	;; [unrolled: 1-line block ×4, first 2 shown]
	s_cbranch_scc0 .LBB80_8
.LBB80_2:                               ; =>This Inner Loop Header: Depth=1
	s_waitcnt vmcnt(0)
	v_add_u32_e32 v10, v3, v2
	v_add3_u32 v10, v10, v4, v5
	s_nop 1
	v_mov_b32_dpp v11, v10 row_shr:1 row_mask:0xf bank_mask:0xf
	v_cndmask_b32_e64 v11, v11, 0, vcc
	v_add_u32_e32 v10, v10, v11
	s_nop 1
	v_mov_b32_dpp v11, v10 row_shr:2 row_mask:0xf bank_mask:0xf
	v_cndmask_b32_e64 v11, 0, v11, s[0:1]
	v_add_u32_e32 v10, v10, v11
	s_nop 1
	v_mov_b32_dpp v11, v10 row_shr:4 row_mask:0xf bank_mask:0xf
	v_cndmask_b32_e64 v11, 0, v11, s[2:3]
	v_add_u32_e32 v10, v10, v11
	s_nop 1
	v_mov_b32_dpp v11, v10 row_shr:8 row_mask:0xf bank_mask:0xf
	v_cndmask_b32_e64 v11, 0, v11, s[4:5]
	v_add_u32_e32 v10, v10, v11
	s_nop 1
	v_mov_b32_dpp v11, v10 row_bcast:15 row_mask:0xf bank_mask:0xf
	v_cndmask_b32_e64 v11, v11, 0, s[6:7]
	v_add_u32_e32 v10, v10, v11
	s_nop 1
	v_mov_b32_dpp v11, v10 row_bcast:31 row_mask:0xf bank_mask:0xf
	v_cndmask_b32_e64 v11, 0, v11, s[8:9]
	v_add_u32_e32 v10, v10, v11
	s_and_saveexec_b64 s[24:25], s[10:11]
	s_cbranch_execz .LBB80_4
; %bb.3:                                ;   in Loop: Header=BB80_2 Depth=1
	ds_write_b32 v8, v10
.LBB80_4:                               ;   in Loop: Header=BB80_2 Depth=1
	s_or_b64 exec, exec, s[24:25]
	s_waitcnt lgkmcnt(0)
	s_barrier
	s_and_saveexec_b64 s[24:25], s[12:13]
	s_cbranch_execz .LBB80_6
; %bb.5:                                ;   in Loop: Header=BB80_2 Depth=1
	ds_read_b32 v11, v0
	s_waitcnt lgkmcnt(0)
	s_nop 0
	v_mov_b32_dpp v12, v11 row_shr:1 row_mask:0xf bank_mask:0xf
	v_cndmask_b32_e64 v12, v12, 0, s[20:21]
	v_add_u32_e32 v11, v12, v11
	s_nop 1
	v_mov_b32_dpp v12, v11 row_shr:2 row_mask:0xf bank_mask:0xf
	v_cndmask_b32_e64 v12, 0, v12, s[22:23]
	v_add_u32_e32 v11, v11, v12
	ds_write_b32 v0, v11
.LBB80_6:                               ;   in Loop: Header=BB80_2 Depth=1
	s_or_b64 exec, exec, s[24:25]
	s_waitcnt lgkmcnt(0)
	s_barrier
	s_waitcnt lgkmcnt(0)
                                        ; implicit-def: $vgpr11
	s_and_saveexec_b64 s[24:25], s[14:15]
	s_cbranch_execz .LBB80_1
; %bb.7:                                ;   in Loop: Header=BB80_2 Depth=1
	ds_read_b32 v11, v9
	s_waitcnt lgkmcnt(0)
	v_add_u32_e32 v10, v11, v10
	s_branch .LBB80_1
.LBB80_8:
	v_mov_b32_e32 v0, s26
	v_mov_b32_e32 v1, s27
	v_lshl_add_u64 v[0:1], v[6:7], 2, v[0:1]
	global_store_dwordx4 v[0:1], v[2:5], off
	s_endpgm
	.section	.rodata,"a",@progbits
	.p2align	6, 0x0
	.amdhsa_kernel _Z6kernelI14inclusive_scanILN6hipcub18BlockScanAlgorithmE0EEiLj256ELj4ELj100EEvPKT0_PS4_S4_
		.amdhsa_group_segment_fixed_size 16
		.amdhsa_private_segment_fixed_size 0
		.amdhsa_kernarg_size 280
		.amdhsa_user_sgpr_count 2
		.amdhsa_user_sgpr_dispatch_ptr 0
		.amdhsa_user_sgpr_queue_ptr 0
		.amdhsa_user_sgpr_kernarg_segment_ptr 1
		.amdhsa_user_sgpr_dispatch_id 0
		.amdhsa_user_sgpr_kernarg_preload_length 0
		.amdhsa_user_sgpr_kernarg_preload_offset 0
		.amdhsa_user_sgpr_private_segment_size 0
		.amdhsa_uses_dynamic_stack 0
		.amdhsa_enable_private_segment 0
		.amdhsa_system_sgpr_workgroup_id_x 1
		.amdhsa_system_sgpr_workgroup_id_y 0
		.amdhsa_system_sgpr_workgroup_id_z 0
		.amdhsa_system_sgpr_workgroup_info 0
		.amdhsa_system_vgpr_workitem_id 0
		.amdhsa_next_free_vgpr 13
		.amdhsa_next_free_sgpr 29
		.amdhsa_accum_offset 16
		.amdhsa_reserve_vcc 1
		.amdhsa_float_round_mode_32 0
		.amdhsa_float_round_mode_16_64 0
		.amdhsa_float_denorm_mode_32 3
		.amdhsa_float_denorm_mode_16_64 3
		.amdhsa_dx10_clamp 1
		.amdhsa_ieee_mode 1
		.amdhsa_fp16_overflow 0
		.amdhsa_tg_split 0
		.amdhsa_exception_fp_ieee_invalid_op 0
		.amdhsa_exception_fp_denorm_src 0
		.amdhsa_exception_fp_ieee_div_zero 0
		.amdhsa_exception_fp_ieee_overflow 0
		.amdhsa_exception_fp_ieee_underflow 0
		.amdhsa_exception_fp_ieee_inexact 0
		.amdhsa_exception_int_div_zero 0
	.end_amdhsa_kernel
	.section	.text._Z6kernelI14inclusive_scanILN6hipcub18BlockScanAlgorithmE0EEiLj256ELj4ELj100EEvPKT0_PS4_S4_,"axG",@progbits,_Z6kernelI14inclusive_scanILN6hipcub18BlockScanAlgorithmE0EEiLj256ELj4ELj100EEvPKT0_PS4_S4_,comdat
.Lfunc_end80:
	.size	_Z6kernelI14inclusive_scanILN6hipcub18BlockScanAlgorithmE0EEiLj256ELj4ELj100EEvPKT0_PS4_S4_, .Lfunc_end80-_Z6kernelI14inclusive_scanILN6hipcub18BlockScanAlgorithmE0EEiLj256ELj4ELj100EEvPKT0_PS4_S4_
                                        ; -- End function
	.section	.AMDGPU.csdata,"",@progbits
; Kernel info:
; codeLenInByte = 648
; NumSgprs: 35
; NumVgprs: 13
; NumAgprs: 0
; TotalNumVgprs: 13
; ScratchSize: 0
; MemoryBound: 0
; FloatMode: 240
; IeeeMode: 1
; LDSByteSize: 16 bytes/workgroup (compile time only)
; SGPRBlocks: 4
; VGPRBlocks: 1
; NumSGPRsForWavesPerEU: 35
; NumVGPRsForWavesPerEU: 13
; AccumOffset: 16
; Occupancy: 8
; WaveLimiterHint : 0
; COMPUTE_PGM_RSRC2:SCRATCH_EN: 0
; COMPUTE_PGM_RSRC2:USER_SGPR: 2
; COMPUTE_PGM_RSRC2:TRAP_HANDLER: 0
; COMPUTE_PGM_RSRC2:TGID_X_EN: 1
; COMPUTE_PGM_RSRC2:TGID_Y_EN: 0
; COMPUTE_PGM_RSRC2:TGID_Z_EN: 0
; COMPUTE_PGM_RSRC2:TIDIG_COMP_CNT: 0
; COMPUTE_PGM_RSRC3_GFX90A:ACCUM_OFFSET: 3
; COMPUTE_PGM_RSRC3_GFX90A:TG_SPLIT: 0
	.section	.text._Z6kernelI14inclusive_scanILN6hipcub18BlockScanAlgorithmE0EEiLj256ELj8ELj100EEvPKT0_PS4_S4_,"axG",@progbits,_Z6kernelI14inclusive_scanILN6hipcub18BlockScanAlgorithmE0EEiLj256ELj8ELj100EEvPKT0_PS4_S4_,comdat
	.protected	_Z6kernelI14inclusive_scanILN6hipcub18BlockScanAlgorithmE0EEiLj256ELj8ELj100EEvPKT0_PS4_S4_ ; -- Begin function _Z6kernelI14inclusive_scanILN6hipcub18BlockScanAlgorithmE0EEiLj256ELj8ELj100EEvPKT0_PS4_S4_
	.globl	_Z6kernelI14inclusive_scanILN6hipcub18BlockScanAlgorithmE0EEiLj256ELj8ELj100EEvPKT0_PS4_S4_
	.p2align	8
	.type	_Z6kernelI14inclusive_scanILN6hipcub18BlockScanAlgorithmE0EEiLj256ELj8ELj100EEvPKT0_PS4_S4_,@function
_Z6kernelI14inclusive_scanILN6hipcub18BlockScanAlgorithmE0EEiLj256ELj8ELj100EEvPKT0_PS4_S4_: ; @_Z6kernelI14inclusive_scanILN6hipcub18BlockScanAlgorithmE0EEiLj256ELj8ELj100EEvPKT0_PS4_S4_
; %bb.0:
	s_load_dwordx4 s[24:27], s[0:1], 0x0
	s_load_dword s3, s[0:1], 0x24
	v_mov_b32_e32 v11, 0
	v_mbcnt_lo_u32_b32 v1, -1, 0
	v_cmp_gt_u32_e64 s[12:13], 4, v0
	s_waitcnt lgkmcnt(0)
	v_mov_b32_e32 v2, s24
	s_and_b32 s0, s3, 0xffff
	s_mul_i32 s2, s2, s0
	v_mov_b32_e32 v3, s25
	v_add_lshl_u32 v10, s2, v0, 3
	v_lshl_add_u64 v[12:13], v[10:11], 2, v[2:3]
	global_load_dwordx4 v[6:9], v[12:13], off
	global_load_dwordx4 v[2:5], v[12:13], off offset:16
	v_mbcnt_hi_u32_b32 v13, -1, v1
	v_and_b32_e32 v1, 15, v13
	v_cmp_eq_u32_e32 vcc, 0, v1
	v_cmp_lt_u32_e64 s[0:1], 1, v1
	v_cmp_lt_u32_e64 s[2:3], 3, v1
	;; [unrolled: 1-line block ×3, first 2 shown]
	v_and_b32_e32 v1, 16, v13
	v_cmp_eq_u32_e64 s[6:7], 0, v1
	v_or_b32_e32 v1, 63, v0
	v_cmp_eq_u32_e64 s[10:11], v1, v0
	v_add_u32_e32 v1, -1, v13
	v_and_b32_e32 v12, 64, v13
	v_cmp_lt_i32_e64 s[16:17], v1, v12
	v_lshrrev_b32_e32 v12, 4, v0
	v_cmp_lt_u32_e64 s[8:9], 31, v13
	v_cndmask_b32_e64 v1, v1, v13, s[16:17]
	v_cmp_eq_u32_e64 s[18:19], 0, v13
	v_and_b32_e32 v12, 12, v12
	v_and_b32_e32 v13, 3, v13
	v_cmp_lt_u32_e64 s[14:15], 63, v0
	v_lshlrev_b32_e32 v1, 2, v1
	v_cmp_eq_u32_e64 s[16:17], 0, v0
	v_lshlrev_b32_e32 v0, 2, v0
	v_cmp_eq_u32_e64 s[20:21], 0, v13
	v_cmp_lt_u32_e64 s[22:23], 1, v13
	v_add_u32_e32 v13, -4, v12
	s_movk_i32 s28, 0x64
	s_branch .LBB81_2
.LBB81_1:                               ;   in Loop: Header=BB81_2 Depth=1
	s_or_b64 exec, exec, s[24:25]
	ds_bpermute_b32 v14, v1, v14
	s_add_i32 s28, s28, -1
	s_cmp_lg_u32 s28, 0
	s_waitcnt lgkmcnt(0)
	v_cndmask_b32_e64 v14, v14, v15, s[18:19]
	v_cndmask_b32_e64 v14, v14, 0, s[16:17]
	v_add_u32_e32 v6, v14, v6
	v_add_u32_e32 v7, v6, v7
	v_add_u32_e32 v8, v7, v8
	v_add_u32_e32 v9, v8, v9
	v_add_u32_e32 v2, v9, v2
	v_add_u32_e32 v3, v2, v3
	v_add_u32_e32 v4, v3, v4
	v_add_u32_e32 v5, v4, v5
	s_cbranch_scc0 .LBB81_8
.LBB81_2:                               ; =>This Inner Loop Header: Depth=1
	s_waitcnt vmcnt(1)
	v_add_u32_e32 v14, v7, v6
	v_add3_u32 v14, v14, v8, v9
	s_waitcnt vmcnt(0)
	v_add3_u32 v14, v14, v2, v3
	v_add3_u32 v14, v14, v4, v5
	s_nop 1
	v_mov_b32_dpp v15, v14 row_shr:1 row_mask:0xf bank_mask:0xf
	v_cndmask_b32_e64 v15, v15, 0, vcc
	v_add_u32_e32 v14, v14, v15
	s_nop 1
	v_mov_b32_dpp v15, v14 row_shr:2 row_mask:0xf bank_mask:0xf
	v_cndmask_b32_e64 v15, 0, v15, s[0:1]
	v_add_u32_e32 v14, v14, v15
	s_nop 1
	v_mov_b32_dpp v15, v14 row_shr:4 row_mask:0xf bank_mask:0xf
	v_cndmask_b32_e64 v15, 0, v15, s[2:3]
	;; [unrolled: 4-line block ×3, first 2 shown]
	v_add_u32_e32 v14, v14, v15
	s_nop 1
	v_mov_b32_dpp v15, v14 row_bcast:15 row_mask:0xf bank_mask:0xf
	v_cndmask_b32_e64 v15, v15, 0, s[6:7]
	v_add_u32_e32 v14, v14, v15
	s_nop 1
	v_mov_b32_dpp v15, v14 row_bcast:31 row_mask:0xf bank_mask:0xf
	v_cndmask_b32_e64 v15, 0, v15, s[8:9]
	v_add_u32_e32 v14, v14, v15
	s_and_saveexec_b64 s[24:25], s[10:11]
	s_cbranch_execz .LBB81_4
; %bb.3:                                ;   in Loop: Header=BB81_2 Depth=1
	ds_write_b32 v12, v14
.LBB81_4:                               ;   in Loop: Header=BB81_2 Depth=1
	s_or_b64 exec, exec, s[24:25]
	s_waitcnt lgkmcnt(0)
	s_barrier
	s_and_saveexec_b64 s[24:25], s[12:13]
	s_cbranch_execz .LBB81_6
; %bb.5:                                ;   in Loop: Header=BB81_2 Depth=1
	ds_read_b32 v15, v0
	s_waitcnt lgkmcnt(0)
	s_nop 0
	v_mov_b32_dpp v16, v15 row_shr:1 row_mask:0xf bank_mask:0xf
	v_cndmask_b32_e64 v16, v16, 0, s[20:21]
	v_add_u32_e32 v15, v16, v15
	s_nop 1
	v_mov_b32_dpp v16, v15 row_shr:2 row_mask:0xf bank_mask:0xf
	v_cndmask_b32_e64 v16, 0, v16, s[22:23]
	v_add_u32_e32 v15, v15, v16
	ds_write_b32 v0, v15
.LBB81_6:                               ;   in Loop: Header=BB81_2 Depth=1
	s_or_b64 exec, exec, s[24:25]
	s_waitcnt lgkmcnt(0)
	s_barrier
	s_waitcnt lgkmcnt(0)
                                        ; implicit-def: $vgpr15
	s_and_saveexec_b64 s[24:25], s[14:15]
	s_cbranch_execz .LBB81_1
; %bb.7:                                ;   in Loop: Header=BB81_2 Depth=1
	ds_read_b32 v15, v13
	s_waitcnt lgkmcnt(0)
	v_add_u32_e32 v14, v15, v14
	s_branch .LBB81_1
.LBB81_8:
	v_mov_b32_e32 v0, s26
	v_mov_b32_e32 v1, s27
	v_lshl_add_u64 v[0:1], v[10:11], 2, v[0:1]
	global_store_dwordx4 v[0:1], v[6:9], off
	global_store_dwordx4 v[0:1], v[2:5], off offset:16
	s_endpgm
	.section	.rodata,"a",@progbits
	.p2align	6, 0x0
	.amdhsa_kernel _Z6kernelI14inclusive_scanILN6hipcub18BlockScanAlgorithmE0EEiLj256ELj8ELj100EEvPKT0_PS4_S4_
		.amdhsa_group_segment_fixed_size 16
		.amdhsa_private_segment_fixed_size 0
		.amdhsa_kernarg_size 280
		.amdhsa_user_sgpr_count 2
		.amdhsa_user_sgpr_dispatch_ptr 0
		.amdhsa_user_sgpr_queue_ptr 0
		.amdhsa_user_sgpr_kernarg_segment_ptr 1
		.amdhsa_user_sgpr_dispatch_id 0
		.amdhsa_user_sgpr_kernarg_preload_length 0
		.amdhsa_user_sgpr_kernarg_preload_offset 0
		.amdhsa_user_sgpr_private_segment_size 0
		.amdhsa_uses_dynamic_stack 0
		.amdhsa_enable_private_segment 0
		.amdhsa_system_sgpr_workgroup_id_x 1
		.amdhsa_system_sgpr_workgroup_id_y 0
		.amdhsa_system_sgpr_workgroup_id_z 0
		.amdhsa_system_sgpr_workgroup_info 0
		.amdhsa_system_vgpr_workitem_id 0
		.amdhsa_next_free_vgpr 17
		.amdhsa_next_free_sgpr 29
		.amdhsa_accum_offset 20
		.amdhsa_reserve_vcc 1
		.amdhsa_float_round_mode_32 0
		.amdhsa_float_round_mode_16_64 0
		.amdhsa_float_denorm_mode_32 3
		.amdhsa_float_denorm_mode_16_64 3
		.amdhsa_dx10_clamp 1
		.amdhsa_ieee_mode 1
		.amdhsa_fp16_overflow 0
		.amdhsa_tg_split 0
		.amdhsa_exception_fp_ieee_invalid_op 0
		.amdhsa_exception_fp_denorm_src 0
		.amdhsa_exception_fp_ieee_div_zero 0
		.amdhsa_exception_fp_ieee_overflow 0
		.amdhsa_exception_fp_ieee_underflow 0
		.amdhsa_exception_fp_ieee_inexact 0
		.amdhsa_exception_int_div_zero 0
	.end_amdhsa_kernel
	.section	.text._Z6kernelI14inclusive_scanILN6hipcub18BlockScanAlgorithmE0EEiLj256ELj8ELj100EEvPKT0_PS4_S4_,"axG",@progbits,_Z6kernelI14inclusive_scanILN6hipcub18BlockScanAlgorithmE0EEiLj256ELj8ELj100EEvPKT0_PS4_S4_,comdat
.Lfunc_end81:
	.size	_Z6kernelI14inclusive_scanILN6hipcub18BlockScanAlgorithmE0EEiLj256ELj8ELj100EEvPKT0_PS4_S4_, .Lfunc_end81-_Z6kernelI14inclusive_scanILN6hipcub18BlockScanAlgorithmE0EEiLj256ELj8ELj100EEvPKT0_PS4_S4_
                                        ; -- End function
	.section	.AMDGPU.csdata,"",@progbits
; Kernel info:
; codeLenInByte = 700
; NumSgprs: 35
; NumVgprs: 17
; NumAgprs: 0
; TotalNumVgprs: 17
; ScratchSize: 0
; MemoryBound: 0
; FloatMode: 240
; IeeeMode: 1
; LDSByteSize: 16 bytes/workgroup (compile time only)
; SGPRBlocks: 4
; VGPRBlocks: 2
; NumSGPRsForWavesPerEU: 35
; NumVGPRsForWavesPerEU: 17
; AccumOffset: 20
; Occupancy: 8
; WaveLimiterHint : 0
; COMPUTE_PGM_RSRC2:SCRATCH_EN: 0
; COMPUTE_PGM_RSRC2:USER_SGPR: 2
; COMPUTE_PGM_RSRC2:TRAP_HANDLER: 0
; COMPUTE_PGM_RSRC2:TGID_X_EN: 1
; COMPUTE_PGM_RSRC2:TGID_Y_EN: 0
; COMPUTE_PGM_RSRC2:TGID_Z_EN: 0
; COMPUTE_PGM_RSRC2:TIDIG_COMP_CNT: 0
; COMPUTE_PGM_RSRC3_GFX90A:ACCUM_OFFSET: 4
; COMPUTE_PGM_RSRC3_GFX90A:TG_SPLIT: 0
	.section	.text._Z6kernelI14inclusive_scanILN6hipcub18BlockScanAlgorithmE0EEiLj256ELj11ELj100EEvPKT0_PS4_S4_,"axG",@progbits,_Z6kernelI14inclusive_scanILN6hipcub18BlockScanAlgorithmE0EEiLj256ELj11ELj100EEvPKT0_PS4_S4_,comdat
	.protected	_Z6kernelI14inclusive_scanILN6hipcub18BlockScanAlgorithmE0EEiLj256ELj11ELj100EEvPKT0_PS4_S4_ ; -- Begin function _Z6kernelI14inclusive_scanILN6hipcub18BlockScanAlgorithmE0EEiLj256ELj11ELj100EEvPKT0_PS4_S4_
	.globl	_Z6kernelI14inclusive_scanILN6hipcub18BlockScanAlgorithmE0EEiLj256ELj11ELj100EEvPKT0_PS4_S4_
	.p2align	8
	.type	_Z6kernelI14inclusive_scanILN6hipcub18BlockScanAlgorithmE0EEiLj256ELj11ELj100EEvPKT0_PS4_S4_,@function
_Z6kernelI14inclusive_scanILN6hipcub18BlockScanAlgorithmE0EEiLj256ELj11ELj100EEvPKT0_PS4_S4_: ; @_Z6kernelI14inclusive_scanILN6hipcub18BlockScanAlgorithmE0EEiLj256ELj11ELj100EEvPKT0_PS4_S4_
; %bb.0:
	s_load_dword s3, s[0:1], 0x24
	s_load_dwordx4 s[24:27], s[0:1], 0x0
	v_mov_b32_e32 v3, 0
	v_mov_b32_e32 v5, v3
	;; [unrolled: 1-line block ×3, first 2 shown]
	s_waitcnt lgkmcnt(0)
	s_and_b32 s0, s3, 0xffff
	s_mul_i32 s2, s2, s0
	v_add_u32_e32 v1, s2, v0
	v_mul_lo_u32 v2, v1, 11
	v_lshl_add_u64 v[18:19], v[2:3], 2, s[24:25]
	v_add_u32_e32 v4, 1, v2
	v_add_u32_e32 v6, 2, v2
	;; [unrolled: 1-line block ×3, first 2 shown]
	v_mov_b32_e32 v9, v3
	v_add_u32_e32 v10, 4, v2
	v_mov_b32_e32 v11, v3
	v_add_u32_e32 v12, 5, v2
	;; [unrolled: 2-line block ×4, first 2 shown]
	v_mov_b32_e32 v17, v3
	v_lshl_add_u64 v[20:21], v[4:5], 2, s[24:25]
	v_lshl_add_u64 v[22:23], v[6:7], 2, s[24:25]
	;; [unrolled: 1-line block ×7, first 2 shown]
	global_load_dword v30, v[18:19], off
	global_load_dword v29, v[20:21], off
	;; [unrolled: 1-line block ×8, first 2 shown]
	v_add_u32_e32 v18, 8, v2
	v_mov_b32_e32 v19, v3
	v_lshl_add_u64 v[34:35], v[18:19], 2, s[24:25]
	v_add_u32_e32 v20, 9, v2
	v_mov_b32_e32 v21, v3
	v_add_u32_e32 v22, 10, v2
	v_mov_b32_e32 v23, v3
	v_lshl_add_u64 v[36:37], v[20:21], 2, s[24:25]
	v_lshl_add_u64 v[38:39], v[22:23], 2, s[24:25]
	global_load_dword v33, v[34:35], off
	global_load_dword v32, v[36:37], off
	;; [unrolled: 1-line block ×3, first 2 shown]
	v_mbcnt_lo_u32_b32 v34, -1, 0
	v_mbcnt_hi_u32_b32 v36, -1, v34
	v_and_b32_e32 v34, 15, v36
	v_cmp_eq_u32_e32 vcc, 0, v34
	v_cmp_lt_u32_e64 s[0:1], 1, v34
	v_cmp_lt_u32_e64 s[2:3], 3, v34
	;; [unrolled: 1-line block ×3, first 2 shown]
	v_and_b32_e32 v34, 16, v36
	v_cmp_eq_u32_e64 s[6:7], 0, v34
	v_or_b32_e32 v34, 63, v0
	v_cmp_eq_u32_e64 s[10:11], v34, v0
	v_add_u32_e32 v34, -1, v36
	v_and_b32_e32 v35, 64, v36
	v_cmp_lt_i32_e64 s[16:17], v34, v35
	v_lshrrev_b32_e32 v35, 4, v0
	v_cmp_lt_u32_e64 s[8:9], 31, v36
	v_cndmask_b32_e64 v34, v34, v36, s[16:17]
	v_cmp_eq_u32_e64 s[18:19], 0, v36
	v_and_b32_e32 v35, 12, v35
	v_and_b32_e32 v36, 3, v36
	v_cmp_gt_u32_e64 s[12:13], 4, v0
	v_cmp_lt_u32_e64 s[14:15], 63, v0
	v_lshlrev_b32_e32 v34, 2, v34
	v_cmp_eq_u32_e64 s[16:17], 0, v0
	v_lshlrev_b32_e32 v0, 2, v0
	v_cmp_eq_u32_e64 s[20:21], 0, v36
	v_cmp_lt_u32_e64 s[22:23], 1, v36
	v_add_u32_e32 v36, -4, v35
	s_movk_i32 s28, 0x64
	s_branch .LBB82_2
.LBB82_1:                               ;   in Loop: Header=BB82_2 Depth=1
	s_or_b64 exec, exec, s[24:25]
	ds_bpermute_b32 v37, v34, v37
	s_add_i32 s28, s28, -1
	s_cmp_lg_u32 s28, 0
	s_waitcnt lgkmcnt(0)
	v_cndmask_b32_e64 v37, v37, v38, s[18:19]
	v_cndmask_b32_e64 v37, v37, 0, s[16:17]
	v_add_u32_e32 v30, v37, v30
	v_add_u32_e32 v29, v30, v29
	;; [unrolled: 1-line block ×11, first 2 shown]
	s_cbranch_scc0 .LBB82_8
.LBB82_2:                               ; =>This Inner Loop Header: Depth=1
	s_waitcnt vmcnt(0)
	v_add3_u32 v37, v32, v31, v33
	v_add3_u32 v37, v37, v1, v24
	;; [unrolled: 1-line block ×5, first 2 shown]
	s_nop 1
	v_mov_b32_dpp v38, v37 row_shr:1 row_mask:0xf bank_mask:0xf
	v_cndmask_b32_e64 v38, v38, 0, vcc
	v_add_u32_e32 v37, v37, v38
	s_nop 1
	v_mov_b32_dpp v38, v37 row_shr:2 row_mask:0xf bank_mask:0xf
	v_cndmask_b32_e64 v38, 0, v38, s[0:1]
	v_add_u32_e32 v37, v37, v38
	s_nop 1
	v_mov_b32_dpp v38, v37 row_shr:4 row_mask:0xf bank_mask:0xf
	v_cndmask_b32_e64 v38, 0, v38, s[2:3]
	;; [unrolled: 4-line block ×3, first 2 shown]
	v_add_u32_e32 v37, v37, v38
	s_nop 1
	v_mov_b32_dpp v38, v37 row_bcast:15 row_mask:0xf bank_mask:0xf
	v_cndmask_b32_e64 v38, v38, 0, s[6:7]
	v_add_u32_e32 v37, v37, v38
	s_nop 1
	v_mov_b32_dpp v38, v37 row_bcast:31 row_mask:0xf bank_mask:0xf
	v_cndmask_b32_e64 v38, 0, v38, s[8:9]
	v_add_u32_e32 v37, v37, v38
	s_and_saveexec_b64 s[24:25], s[10:11]
	s_cbranch_execz .LBB82_4
; %bb.3:                                ;   in Loop: Header=BB82_2 Depth=1
	ds_write_b32 v35, v37
.LBB82_4:                               ;   in Loop: Header=BB82_2 Depth=1
	s_or_b64 exec, exec, s[24:25]
	s_waitcnt lgkmcnt(0)
	s_barrier
	s_and_saveexec_b64 s[24:25], s[12:13]
	s_cbranch_execz .LBB82_6
; %bb.5:                                ;   in Loop: Header=BB82_2 Depth=1
	ds_read_b32 v38, v0
	s_waitcnt lgkmcnt(0)
	s_nop 0
	v_mov_b32_dpp v39, v38 row_shr:1 row_mask:0xf bank_mask:0xf
	v_cndmask_b32_e64 v39, v39, 0, s[20:21]
	v_add_u32_e32 v38, v39, v38
	s_nop 1
	v_mov_b32_dpp v39, v38 row_shr:2 row_mask:0xf bank_mask:0xf
	v_cndmask_b32_e64 v39, 0, v39, s[22:23]
	v_add_u32_e32 v38, v38, v39
	ds_write_b32 v0, v38
.LBB82_6:                               ;   in Loop: Header=BB82_2 Depth=1
	s_or_b64 exec, exec, s[24:25]
	s_waitcnt lgkmcnt(0)
	s_barrier
	s_waitcnt lgkmcnt(0)
                                        ; implicit-def: $vgpr38
	s_and_saveexec_b64 s[24:25], s[14:15]
	s_cbranch_execz .LBB82_1
; %bb.7:                                ;   in Loop: Header=BB82_2 Depth=1
	ds_read_b32 v38, v36
	s_waitcnt lgkmcnt(0)
	v_add_u32_e32 v37, v38, v37
	s_branch .LBB82_1
.LBB82_8:
	v_lshl_add_u64 v[2:3], v[2:3], 2, s[26:27]
	global_store_dword v[2:3], v30, off
	v_lshl_add_u64 v[2:3], v[4:5], 2, s[26:27]
	global_store_dword v[2:3], v29, off
	;; [unrolled: 2-line block ×11, first 2 shown]
	s_endpgm
	.section	.rodata,"a",@progbits
	.p2align	6, 0x0
	.amdhsa_kernel _Z6kernelI14inclusive_scanILN6hipcub18BlockScanAlgorithmE0EEiLj256ELj11ELj100EEvPKT0_PS4_S4_
		.amdhsa_group_segment_fixed_size 16
		.amdhsa_private_segment_fixed_size 0
		.amdhsa_kernarg_size 280
		.amdhsa_user_sgpr_count 2
		.amdhsa_user_sgpr_dispatch_ptr 0
		.amdhsa_user_sgpr_queue_ptr 0
		.amdhsa_user_sgpr_kernarg_segment_ptr 1
		.amdhsa_user_sgpr_dispatch_id 0
		.amdhsa_user_sgpr_kernarg_preload_length 0
		.amdhsa_user_sgpr_kernarg_preload_offset 0
		.amdhsa_user_sgpr_private_segment_size 0
		.amdhsa_uses_dynamic_stack 0
		.amdhsa_enable_private_segment 0
		.amdhsa_system_sgpr_workgroup_id_x 1
		.amdhsa_system_sgpr_workgroup_id_y 0
		.amdhsa_system_sgpr_workgroup_id_z 0
		.amdhsa_system_sgpr_workgroup_info 0
		.amdhsa_system_vgpr_workitem_id 0
		.amdhsa_next_free_vgpr 42
		.amdhsa_next_free_sgpr 29
		.amdhsa_accum_offset 44
		.amdhsa_reserve_vcc 1
		.amdhsa_float_round_mode_32 0
		.amdhsa_float_round_mode_16_64 0
		.amdhsa_float_denorm_mode_32 3
		.amdhsa_float_denorm_mode_16_64 3
		.amdhsa_dx10_clamp 1
		.amdhsa_ieee_mode 1
		.amdhsa_fp16_overflow 0
		.amdhsa_tg_split 0
		.amdhsa_exception_fp_ieee_invalid_op 0
		.amdhsa_exception_fp_denorm_src 0
		.amdhsa_exception_fp_ieee_div_zero 0
		.amdhsa_exception_fp_ieee_overflow 0
		.amdhsa_exception_fp_ieee_underflow 0
		.amdhsa_exception_fp_ieee_inexact 0
		.amdhsa_exception_int_div_zero 0
	.end_amdhsa_kernel
	.section	.text._Z6kernelI14inclusive_scanILN6hipcub18BlockScanAlgorithmE0EEiLj256ELj11ELj100EEvPKT0_PS4_S4_,"axG",@progbits,_Z6kernelI14inclusive_scanILN6hipcub18BlockScanAlgorithmE0EEiLj256ELj11ELj100EEvPKT0_PS4_S4_,comdat
.Lfunc_end82:
	.size	_Z6kernelI14inclusive_scanILN6hipcub18BlockScanAlgorithmE0EEiLj256ELj11ELj100EEvPKT0_PS4_S4_, .Lfunc_end82-_Z6kernelI14inclusive_scanILN6hipcub18BlockScanAlgorithmE0EEiLj256ELj11ELj100EEvPKT0_PS4_S4_
                                        ; -- End function
	.section	.AMDGPU.csdata,"",@progbits
; Kernel info:
; codeLenInByte = 1092
; NumSgprs: 35
; NumVgprs: 42
; NumAgprs: 0
; TotalNumVgprs: 42
; ScratchSize: 0
; MemoryBound: 0
; FloatMode: 240
; IeeeMode: 1
; LDSByteSize: 16 bytes/workgroup (compile time only)
; SGPRBlocks: 4
; VGPRBlocks: 5
; NumSGPRsForWavesPerEU: 35
; NumVGPRsForWavesPerEU: 42
; AccumOffset: 44
; Occupancy: 8
; WaveLimiterHint : 0
; COMPUTE_PGM_RSRC2:SCRATCH_EN: 0
; COMPUTE_PGM_RSRC2:USER_SGPR: 2
; COMPUTE_PGM_RSRC2:TRAP_HANDLER: 0
; COMPUTE_PGM_RSRC2:TGID_X_EN: 1
; COMPUTE_PGM_RSRC2:TGID_Y_EN: 0
; COMPUTE_PGM_RSRC2:TGID_Z_EN: 0
; COMPUTE_PGM_RSRC2:TIDIG_COMP_CNT: 0
; COMPUTE_PGM_RSRC3_GFX90A:ACCUM_OFFSET: 10
; COMPUTE_PGM_RSRC3_GFX90A:TG_SPLIT: 0
	.section	.text._Z6kernelI14inclusive_scanILN6hipcub18BlockScanAlgorithmE0EEiLj256ELj16ELj100EEvPKT0_PS4_S4_,"axG",@progbits,_Z6kernelI14inclusive_scanILN6hipcub18BlockScanAlgorithmE0EEiLj256ELj16ELj100EEvPKT0_PS4_S4_,comdat
	.protected	_Z6kernelI14inclusive_scanILN6hipcub18BlockScanAlgorithmE0EEiLj256ELj16ELj100EEvPKT0_PS4_S4_ ; -- Begin function _Z6kernelI14inclusive_scanILN6hipcub18BlockScanAlgorithmE0EEiLj256ELj16ELj100EEvPKT0_PS4_S4_
	.globl	_Z6kernelI14inclusive_scanILN6hipcub18BlockScanAlgorithmE0EEiLj256ELj16ELj100EEvPKT0_PS4_S4_
	.p2align	8
	.type	_Z6kernelI14inclusive_scanILN6hipcub18BlockScanAlgorithmE0EEiLj256ELj16ELj100EEvPKT0_PS4_S4_,@function
_Z6kernelI14inclusive_scanILN6hipcub18BlockScanAlgorithmE0EEiLj256ELj16ELj100EEvPKT0_PS4_S4_: ; @_Z6kernelI14inclusive_scanILN6hipcub18BlockScanAlgorithmE0EEiLj256ELj16ELj100EEvPKT0_PS4_S4_
; %bb.0:
	s_load_dwordx4 s[24:27], s[0:1], 0x0
	s_load_dword s3, s[0:1], 0x24
	v_mov_b32_e32 v19, 0
	v_mbcnt_lo_u32_b32 v1, -1, 0
	v_cmp_gt_u32_e64 s[12:13], 4, v0
	s_waitcnt lgkmcnt(0)
	v_mov_b32_e32 v2, s24
	s_and_b32 s0, s3, 0xffff
	s_mul_i32 s2, s2, s0
	v_mov_b32_e32 v3, s25
	v_add_lshl_u32 v18, s2, v0, 4
	v_lshl_add_u64 v[20:21], v[18:19], 2, v[2:3]
	global_load_dwordx4 v[2:5], v[20:21], off offset:48
	global_load_dwordx4 v[6:9], v[20:21], off offset:32
	;; [unrolled: 1-line block ×3, first 2 shown]
	global_load_dwordx4 v[14:17], v[20:21], off
	v_mbcnt_hi_u32_b32 v21, -1, v1
	v_and_b32_e32 v1, 15, v21
	v_cmp_eq_u32_e32 vcc, 0, v1
	v_cmp_lt_u32_e64 s[0:1], 1, v1
	v_cmp_lt_u32_e64 s[2:3], 3, v1
	;; [unrolled: 1-line block ×3, first 2 shown]
	v_and_b32_e32 v1, 16, v21
	v_cmp_eq_u32_e64 s[6:7], 0, v1
	v_or_b32_e32 v1, 63, v0
	v_cmp_eq_u32_e64 s[10:11], v1, v0
	v_add_u32_e32 v1, -1, v21
	v_and_b32_e32 v20, 64, v21
	v_cmp_lt_i32_e64 s[16:17], v1, v20
	v_lshrrev_b32_e32 v20, 4, v0
	v_cmp_lt_u32_e64 s[8:9], 31, v21
	v_cndmask_b32_e64 v1, v1, v21, s[16:17]
	v_cmp_eq_u32_e64 s[18:19], 0, v21
	v_and_b32_e32 v20, 12, v20
	v_and_b32_e32 v21, 3, v21
	v_cmp_lt_u32_e64 s[14:15], 63, v0
	v_lshlrev_b32_e32 v1, 2, v1
	v_cmp_eq_u32_e64 s[16:17], 0, v0
	v_lshlrev_b32_e32 v0, 2, v0
	v_cmp_eq_u32_e64 s[20:21], 0, v21
	v_cmp_lt_u32_e64 s[22:23], 1, v21
	v_add_u32_e32 v21, -4, v20
	s_movk_i32 s28, 0x64
	s_branch .LBB83_2
.LBB83_1:                               ;   in Loop: Header=BB83_2 Depth=1
	s_or_b64 exec, exec, s[24:25]
	ds_bpermute_b32 v22, v1, v22
	s_add_i32 s28, s28, -1
	s_cmp_lg_u32 s28, 0
	s_waitcnt lgkmcnt(0)
	v_cndmask_b32_e64 v22, v22, v23, s[18:19]
	v_cndmask_b32_e64 v22, v22, 0, s[16:17]
	v_add_u32_e32 v14, v22, v14
	v_add_u32_e32 v15, v14, v15
	;; [unrolled: 1-line block ×16, first 2 shown]
	s_cbranch_scc0 .LBB83_8
.LBB83_2:                               ; =>This Inner Loop Header: Depth=1
	s_waitcnt vmcnt(3)
	v_add_u32_e32 v22, v4, v5
	v_add3_u32 v22, v22, v3, v2
	s_waitcnt vmcnt(2)
	v_add3_u32 v22, v22, v9, v8
	v_add3_u32 v22, v22, v7, v6
	s_waitcnt vmcnt(1)
	v_add3_u32 v22, v22, v13, v12
	;; [unrolled: 3-line block ×3, first 2 shown]
	v_add3_u32 v22, v22, v15, v14
	s_nop 1
	v_mov_b32_dpp v23, v22 row_shr:1 row_mask:0xf bank_mask:0xf
	v_cndmask_b32_e64 v23, v23, 0, vcc
	v_add_u32_e32 v22, v22, v23
	s_nop 1
	v_mov_b32_dpp v23, v22 row_shr:2 row_mask:0xf bank_mask:0xf
	v_cndmask_b32_e64 v23, 0, v23, s[0:1]
	v_add_u32_e32 v22, v22, v23
	s_nop 1
	v_mov_b32_dpp v23, v22 row_shr:4 row_mask:0xf bank_mask:0xf
	v_cndmask_b32_e64 v23, 0, v23, s[2:3]
	;; [unrolled: 4-line block ×3, first 2 shown]
	v_add_u32_e32 v22, v22, v23
	s_nop 1
	v_mov_b32_dpp v23, v22 row_bcast:15 row_mask:0xf bank_mask:0xf
	v_cndmask_b32_e64 v23, v23, 0, s[6:7]
	v_add_u32_e32 v22, v22, v23
	s_nop 1
	v_mov_b32_dpp v23, v22 row_bcast:31 row_mask:0xf bank_mask:0xf
	v_cndmask_b32_e64 v23, 0, v23, s[8:9]
	v_add_u32_e32 v22, v22, v23
	s_and_saveexec_b64 s[24:25], s[10:11]
	s_cbranch_execz .LBB83_4
; %bb.3:                                ;   in Loop: Header=BB83_2 Depth=1
	ds_write_b32 v20, v22
.LBB83_4:                               ;   in Loop: Header=BB83_2 Depth=1
	s_or_b64 exec, exec, s[24:25]
	s_waitcnt lgkmcnt(0)
	s_barrier
	s_and_saveexec_b64 s[24:25], s[12:13]
	s_cbranch_execz .LBB83_6
; %bb.5:                                ;   in Loop: Header=BB83_2 Depth=1
	ds_read_b32 v23, v0
	s_waitcnt lgkmcnt(0)
	s_nop 0
	v_mov_b32_dpp v24, v23 row_shr:1 row_mask:0xf bank_mask:0xf
	v_cndmask_b32_e64 v24, v24, 0, s[20:21]
	v_add_u32_e32 v23, v24, v23
	s_nop 1
	v_mov_b32_dpp v24, v23 row_shr:2 row_mask:0xf bank_mask:0xf
	v_cndmask_b32_e64 v24, 0, v24, s[22:23]
	v_add_u32_e32 v23, v23, v24
	ds_write_b32 v0, v23
.LBB83_6:                               ;   in Loop: Header=BB83_2 Depth=1
	s_or_b64 exec, exec, s[24:25]
	s_waitcnt lgkmcnt(0)
	s_barrier
	s_waitcnt lgkmcnt(0)
                                        ; implicit-def: $vgpr23
	s_and_saveexec_b64 s[24:25], s[14:15]
	s_cbranch_execz .LBB83_1
; %bb.7:                                ;   in Loop: Header=BB83_2 Depth=1
	ds_read_b32 v23, v21
	s_waitcnt lgkmcnt(0)
	v_add_u32_e32 v22, v23, v22
	s_branch .LBB83_1
.LBB83_8:
	v_mov_b32_e32 v0, s26
	v_mov_b32_e32 v1, s27
	v_lshl_add_u64 v[0:1], v[18:19], 2, v[0:1]
	global_store_dwordx4 v[0:1], v[14:17], off
	global_store_dwordx4 v[0:1], v[10:13], off offset:16
	global_store_dwordx4 v[0:1], v[6:9], off offset:32
	;; [unrolled: 1-line block ×3, first 2 shown]
	s_endpgm
	.section	.rodata,"a",@progbits
	.p2align	6, 0x0
	.amdhsa_kernel _Z6kernelI14inclusive_scanILN6hipcub18BlockScanAlgorithmE0EEiLj256ELj16ELj100EEvPKT0_PS4_S4_
		.amdhsa_group_segment_fixed_size 16
		.amdhsa_private_segment_fixed_size 0
		.amdhsa_kernarg_size 280
		.amdhsa_user_sgpr_count 2
		.amdhsa_user_sgpr_dispatch_ptr 0
		.amdhsa_user_sgpr_queue_ptr 0
		.amdhsa_user_sgpr_kernarg_segment_ptr 1
		.amdhsa_user_sgpr_dispatch_id 0
		.amdhsa_user_sgpr_kernarg_preload_length 0
		.amdhsa_user_sgpr_kernarg_preload_offset 0
		.amdhsa_user_sgpr_private_segment_size 0
		.amdhsa_uses_dynamic_stack 0
		.amdhsa_enable_private_segment 0
		.amdhsa_system_sgpr_workgroup_id_x 1
		.amdhsa_system_sgpr_workgroup_id_y 0
		.amdhsa_system_sgpr_workgroup_id_z 0
		.amdhsa_system_sgpr_workgroup_info 0
		.amdhsa_system_vgpr_workitem_id 0
		.amdhsa_next_free_vgpr 25
		.amdhsa_next_free_sgpr 29
		.amdhsa_accum_offset 28
		.amdhsa_reserve_vcc 1
		.amdhsa_float_round_mode_32 0
		.amdhsa_float_round_mode_16_64 0
		.amdhsa_float_denorm_mode_32 3
		.amdhsa_float_denorm_mode_16_64 3
		.amdhsa_dx10_clamp 1
		.amdhsa_ieee_mode 1
		.amdhsa_fp16_overflow 0
		.amdhsa_tg_split 0
		.amdhsa_exception_fp_ieee_invalid_op 0
		.amdhsa_exception_fp_denorm_src 0
		.amdhsa_exception_fp_ieee_div_zero 0
		.amdhsa_exception_fp_ieee_overflow 0
		.amdhsa_exception_fp_ieee_underflow 0
		.amdhsa_exception_fp_ieee_inexact 0
		.amdhsa_exception_int_div_zero 0
	.end_amdhsa_kernel
	.section	.text._Z6kernelI14inclusive_scanILN6hipcub18BlockScanAlgorithmE0EEiLj256ELj16ELj100EEvPKT0_PS4_S4_,"axG",@progbits,_Z6kernelI14inclusive_scanILN6hipcub18BlockScanAlgorithmE0EEiLj256ELj16ELj100EEvPKT0_PS4_S4_,comdat
.Lfunc_end83:
	.size	_Z6kernelI14inclusive_scanILN6hipcub18BlockScanAlgorithmE0EEiLj256ELj16ELj100EEvPKT0_PS4_S4_, .Lfunc_end83-_Z6kernelI14inclusive_scanILN6hipcub18BlockScanAlgorithmE0EEiLj256ELj16ELj100EEvPKT0_PS4_S4_
                                        ; -- End function
	.section	.AMDGPU.csdata,"",@progbits
; Kernel info:
; codeLenInByte = 804
; NumSgprs: 35
; NumVgprs: 25
; NumAgprs: 0
; TotalNumVgprs: 25
; ScratchSize: 0
; MemoryBound: 0
; FloatMode: 240
; IeeeMode: 1
; LDSByteSize: 16 bytes/workgroup (compile time only)
; SGPRBlocks: 4
; VGPRBlocks: 3
; NumSGPRsForWavesPerEU: 35
; NumVGPRsForWavesPerEU: 25
; AccumOffset: 28
; Occupancy: 8
; WaveLimiterHint : 0
; COMPUTE_PGM_RSRC2:SCRATCH_EN: 0
; COMPUTE_PGM_RSRC2:USER_SGPR: 2
; COMPUTE_PGM_RSRC2:TRAP_HANDLER: 0
; COMPUTE_PGM_RSRC2:TGID_X_EN: 1
; COMPUTE_PGM_RSRC2:TGID_Y_EN: 0
; COMPUTE_PGM_RSRC2:TGID_Z_EN: 0
; COMPUTE_PGM_RSRC2:TIDIG_COMP_CNT: 0
; COMPUTE_PGM_RSRC3_GFX90A:ACCUM_OFFSET: 6
; COMPUTE_PGM_RSRC3_GFX90A:TG_SPLIT: 0
	.section	.text._Z6kernelI14inclusive_scanILN6hipcub18BlockScanAlgorithmE0EEfLj256ELj1ELj100EEvPKT0_PS4_S4_,"axG",@progbits,_Z6kernelI14inclusive_scanILN6hipcub18BlockScanAlgorithmE0EEfLj256ELj1ELj100EEvPKT0_PS4_S4_,comdat
	.protected	_Z6kernelI14inclusive_scanILN6hipcub18BlockScanAlgorithmE0EEfLj256ELj1ELj100EEvPKT0_PS4_S4_ ; -- Begin function _Z6kernelI14inclusive_scanILN6hipcub18BlockScanAlgorithmE0EEfLj256ELj1ELj100EEvPKT0_PS4_S4_
	.globl	_Z6kernelI14inclusive_scanILN6hipcub18BlockScanAlgorithmE0EEfLj256ELj1ELj100EEvPKT0_PS4_S4_
	.p2align	8
	.type	_Z6kernelI14inclusive_scanILN6hipcub18BlockScanAlgorithmE0EEfLj256ELj1ELj100EEvPKT0_PS4_S4_,@function
_Z6kernelI14inclusive_scanILN6hipcub18BlockScanAlgorithmE0EEfLj256ELj1ELj100EEvPKT0_PS4_S4_: ; @_Z6kernelI14inclusive_scanILN6hipcub18BlockScanAlgorithmE0EEfLj256ELj1ELj100EEvPKT0_PS4_S4_
; %bb.0:
	s_load_dwordx4 s[20:23], s[0:1], 0x0
	s_load_dword s3, s[0:1], 0x24
	v_mov_b32_e32 v3, 0
	v_cmp_gt_u32_e64 s[12:13], 4, v0
	v_cmp_lt_u32_e64 s[14:15], 63, v0
	s_waitcnt lgkmcnt(0)
	v_mov_b32_e32 v4, s20
	s_and_b32 s0, s3, 0xffff
	s_mul_i32 s2, s2, s0
	v_mov_b32_e32 v5, s21
	v_add_u32_e32 v2, s2, v0
	v_lshl_add_u64 v[4:5], v[2:3], 2, v[4:5]
	global_load_dword v1, v[4:5], off
	v_mbcnt_lo_u32_b32 v4, -1, 0
	v_mbcnt_hi_u32_b32 v5, -1, v4
	v_and_b32_e32 v4, 15, v5
	v_cmp_eq_u32_e32 vcc, 0, v4
	v_cmp_lt_u32_e64 s[0:1], 1, v4
	v_cmp_lt_u32_e64 s[2:3], 3, v4
	;; [unrolled: 1-line block ×3, first 2 shown]
	v_and_b32_e32 v4, 16, v5
	v_cmp_eq_u32_e64 s[6:7], 0, v4
	v_or_b32_e32 v4, 63, v0
	v_cmp_eq_u32_e64 s[10:11], v4, v0
	v_lshrrev_b32_e32 v4, 4, v0
	v_cmp_lt_u32_e64 s[8:9], 31, v5
	v_and_b32_e32 v4, 12, v4
	v_and_b32_e32 v5, 3, v5
	v_lshlrev_b32_e32 v0, 2, v0
	v_cmp_eq_u32_e64 s[16:17], 0, v5
	v_cmp_lt_u32_e64 s[18:19], 1, v5
	v_add_u32_e32 v5, -4, v4
	s_movk_i32 s24, 0x64
	s_branch .LBB84_2
.LBB84_1:                               ;   in Loop: Header=BB84_2 Depth=1
	s_or_b64 exec, exec, s[20:21]
	s_add_i32 s24, s24, -1
	s_cmp_lg_u32 s24, 0
	s_cbranch_scc0 .LBB84_8
.LBB84_2:                               ; =>This Inner Loop Header: Depth=1
	s_waitcnt vmcnt(0)
	v_mov_b32_dpp v6, v1 row_shr:1 row_mask:0xf bank_mask:0xf
	v_add_f32_e32 v6, v1, v6
	v_cndmask_b32_e32 v1, v6, v1, vcc
	s_nop 1
	v_mov_b32_dpp v6, v1 row_shr:2 row_mask:0xf bank_mask:0xf
	v_add_f32_e32 v6, v1, v6
	v_cndmask_b32_e64 v1, v1, v6, s[0:1]
	s_nop 1
	v_mov_b32_dpp v6, v1 row_shr:4 row_mask:0xf bank_mask:0xf
	v_add_f32_e32 v6, v1, v6
	v_cndmask_b32_e64 v1, v1, v6, s[2:3]
	;; [unrolled: 4-line block ×3, first 2 shown]
	s_nop 1
	v_mov_b32_dpp v6, v1 row_bcast:15 row_mask:0xf bank_mask:0xf
	v_add_f32_e32 v6, v1, v6
	v_cndmask_b32_e64 v1, v6, v1, s[6:7]
	s_nop 1
	v_mov_b32_dpp v6, v1 row_bcast:31 row_mask:0xf bank_mask:0xf
	v_add_f32_e32 v6, v1, v6
	v_cndmask_b32_e64 v1, v1, v6, s[8:9]
	s_and_saveexec_b64 s[20:21], s[10:11]
	s_cbranch_execz .LBB84_4
; %bb.3:                                ;   in Loop: Header=BB84_2 Depth=1
	ds_write_b32 v4, v1
.LBB84_4:                               ;   in Loop: Header=BB84_2 Depth=1
	s_or_b64 exec, exec, s[20:21]
	s_waitcnt lgkmcnt(0)
	s_barrier
	s_and_saveexec_b64 s[20:21], s[12:13]
	s_cbranch_execz .LBB84_6
; %bb.5:                                ;   in Loop: Header=BB84_2 Depth=1
	ds_read_b32 v6, v0
	s_waitcnt lgkmcnt(0)
	s_nop 0
	v_mov_b32_dpp v7, v6 row_shr:1 row_mask:0xf bank_mask:0xf
	v_add_f32_e32 v7, v6, v7
	v_cndmask_b32_e64 v6, v7, v6, s[16:17]
	s_nop 1
	v_mov_b32_dpp v7, v6 row_shr:2 row_mask:0xf bank_mask:0xf
	v_add_f32_e32 v7, v6, v7
	v_cndmask_b32_e64 v6, v6, v7, s[18:19]
	ds_write_b32 v0, v6
.LBB84_6:                               ;   in Loop: Header=BB84_2 Depth=1
	s_or_b64 exec, exec, s[20:21]
	s_waitcnt lgkmcnt(0)
	s_barrier
	s_and_saveexec_b64 s[20:21], s[14:15]
	s_cbranch_execz .LBB84_1
; %bb.7:                                ;   in Loop: Header=BB84_2 Depth=1
	ds_read_b32 v6, v5
	s_waitcnt lgkmcnt(0)
	v_add_f32_e32 v1, v1, v6
	s_branch .LBB84_1
.LBB84_8:
	v_mov_b32_e32 v4, s22
	v_mov_b32_e32 v5, s23
	v_lshl_add_u64 v[2:3], v[2:3], 2, v[4:5]
	global_store_dword v[2:3], v1, off
	s_endpgm
	.section	.rodata,"a",@progbits
	.p2align	6, 0x0
	.amdhsa_kernel _Z6kernelI14inclusive_scanILN6hipcub18BlockScanAlgorithmE0EEfLj256ELj1ELj100EEvPKT0_PS4_S4_
		.amdhsa_group_segment_fixed_size 16
		.amdhsa_private_segment_fixed_size 0
		.amdhsa_kernarg_size 280
		.amdhsa_user_sgpr_count 2
		.amdhsa_user_sgpr_dispatch_ptr 0
		.amdhsa_user_sgpr_queue_ptr 0
		.amdhsa_user_sgpr_kernarg_segment_ptr 1
		.amdhsa_user_sgpr_dispatch_id 0
		.amdhsa_user_sgpr_kernarg_preload_length 0
		.amdhsa_user_sgpr_kernarg_preload_offset 0
		.amdhsa_user_sgpr_private_segment_size 0
		.amdhsa_uses_dynamic_stack 0
		.amdhsa_enable_private_segment 0
		.amdhsa_system_sgpr_workgroup_id_x 1
		.amdhsa_system_sgpr_workgroup_id_y 0
		.amdhsa_system_sgpr_workgroup_id_z 0
		.amdhsa_system_sgpr_workgroup_info 0
		.amdhsa_system_vgpr_workitem_id 0
		.amdhsa_next_free_vgpr 8
		.amdhsa_next_free_sgpr 25
		.amdhsa_accum_offset 8
		.amdhsa_reserve_vcc 1
		.amdhsa_float_round_mode_32 0
		.amdhsa_float_round_mode_16_64 0
		.amdhsa_float_denorm_mode_32 3
		.amdhsa_float_denorm_mode_16_64 3
		.amdhsa_dx10_clamp 1
		.amdhsa_ieee_mode 1
		.amdhsa_fp16_overflow 0
		.amdhsa_tg_split 0
		.amdhsa_exception_fp_ieee_invalid_op 0
		.amdhsa_exception_fp_denorm_src 0
		.amdhsa_exception_fp_ieee_div_zero 0
		.amdhsa_exception_fp_ieee_overflow 0
		.amdhsa_exception_fp_ieee_underflow 0
		.amdhsa_exception_fp_ieee_inexact 0
		.amdhsa_exception_int_div_zero 0
	.end_amdhsa_kernel
	.section	.text._Z6kernelI14inclusive_scanILN6hipcub18BlockScanAlgorithmE0EEfLj256ELj1ELj100EEvPKT0_PS4_S4_,"axG",@progbits,_Z6kernelI14inclusive_scanILN6hipcub18BlockScanAlgorithmE0EEfLj256ELj1ELj100EEvPKT0_PS4_S4_,comdat
.Lfunc_end84:
	.size	_Z6kernelI14inclusive_scanILN6hipcub18BlockScanAlgorithmE0EEfLj256ELj1ELj100EEvPKT0_PS4_S4_, .Lfunc_end84-_Z6kernelI14inclusive_scanILN6hipcub18BlockScanAlgorithmE0EEfLj256ELj1ELj100EEvPKT0_PS4_S4_
                                        ; -- End function
	.section	.AMDGPU.csdata,"",@progbits
; Kernel info:
; codeLenInByte = 532
; NumSgprs: 31
; NumVgprs: 8
; NumAgprs: 0
; TotalNumVgprs: 8
; ScratchSize: 0
; MemoryBound: 0
; FloatMode: 240
; IeeeMode: 1
; LDSByteSize: 16 bytes/workgroup (compile time only)
; SGPRBlocks: 3
; VGPRBlocks: 0
; NumSGPRsForWavesPerEU: 31
; NumVGPRsForWavesPerEU: 8
; AccumOffset: 8
; Occupancy: 8
; WaveLimiterHint : 0
; COMPUTE_PGM_RSRC2:SCRATCH_EN: 0
; COMPUTE_PGM_RSRC2:USER_SGPR: 2
; COMPUTE_PGM_RSRC2:TRAP_HANDLER: 0
; COMPUTE_PGM_RSRC2:TGID_X_EN: 1
; COMPUTE_PGM_RSRC2:TGID_Y_EN: 0
; COMPUTE_PGM_RSRC2:TGID_Z_EN: 0
; COMPUTE_PGM_RSRC2:TIDIG_COMP_CNT: 0
; COMPUTE_PGM_RSRC3_GFX90A:ACCUM_OFFSET: 1
; COMPUTE_PGM_RSRC3_GFX90A:TG_SPLIT: 0
	.section	.text._Z6kernelI14inclusive_scanILN6hipcub18BlockScanAlgorithmE0EEfLj256ELj3ELj100EEvPKT0_PS4_S4_,"axG",@progbits,_Z6kernelI14inclusive_scanILN6hipcub18BlockScanAlgorithmE0EEfLj256ELj3ELj100EEvPKT0_PS4_S4_,comdat
	.protected	_Z6kernelI14inclusive_scanILN6hipcub18BlockScanAlgorithmE0EEfLj256ELj3ELj100EEvPKT0_PS4_S4_ ; -- Begin function _Z6kernelI14inclusive_scanILN6hipcub18BlockScanAlgorithmE0EEfLj256ELj3ELj100EEvPKT0_PS4_S4_
	.globl	_Z6kernelI14inclusive_scanILN6hipcub18BlockScanAlgorithmE0EEfLj256ELj3ELj100EEvPKT0_PS4_S4_
	.p2align	8
	.type	_Z6kernelI14inclusive_scanILN6hipcub18BlockScanAlgorithmE0EEfLj256ELj3ELj100EEvPKT0_PS4_S4_,@function
_Z6kernelI14inclusive_scanILN6hipcub18BlockScanAlgorithmE0EEfLj256ELj3ELj100EEvPKT0_PS4_S4_: ; @_Z6kernelI14inclusive_scanILN6hipcub18BlockScanAlgorithmE0EEfLj256ELj3ELj100EEvPKT0_PS4_S4_
; %bb.0:
	s_load_dword s3, s[0:1], 0x24
	s_load_dwordx4 s[24:27], s[0:1], 0x0
	v_mov_b32_e32 v3, 0
	v_mov_b32_e32 v5, v3
	;; [unrolled: 1-line block ×3, first 2 shown]
	s_waitcnt lgkmcnt(0)
	s_and_b32 s0, s3, 0xffff
	s_mul_i32 s2, s2, s0
	v_add_u32_e32 v1, s2, v0
	v_lshl_add_u32 v2, v1, 1, v1
	v_lshl_add_u64 v[10:11], v[2:3], 2, s[24:25]
	v_add_u32_e32 v4, 1, v2
	v_add_u32_e32 v6, 2, v2
	v_lshl_add_u64 v[12:13], v[4:5], 2, s[24:25]
	v_lshl_add_u64 v[14:15], v[6:7], 2, s[24:25]
	global_load_dword v9, v[10:11], off
	global_load_dword v8, v[12:13], off
	;; [unrolled: 1-line block ×3, first 2 shown]
	v_mbcnt_lo_u32_b32 v10, -1, 0
	v_mbcnt_hi_u32_b32 v12, -1, v10
	v_and_b32_e32 v10, 15, v12
	v_cmp_eq_u32_e32 vcc, 0, v10
	v_cmp_lt_u32_e64 s[0:1], 1, v10
	v_cmp_lt_u32_e64 s[2:3], 3, v10
	;; [unrolled: 1-line block ×3, first 2 shown]
	v_and_b32_e32 v10, 16, v12
	v_cmp_eq_u32_e64 s[6:7], 0, v10
	v_or_b32_e32 v10, 63, v0
	v_cmp_eq_u32_e64 s[10:11], v10, v0
	v_add_u32_e32 v10, -1, v12
	v_and_b32_e32 v11, 64, v12
	v_cmp_lt_i32_e64 s[16:17], v10, v11
	v_lshrrev_b32_e32 v11, 4, v0
	v_cmp_lt_u32_e64 s[8:9], 31, v12
	v_cndmask_b32_e64 v10, v10, v12, s[16:17]
	v_cmp_eq_u32_e64 s[18:19], 0, v12
	v_and_b32_e32 v11, 12, v11
	v_and_b32_e32 v12, 3, v12
	v_cmp_gt_u32_e64 s[12:13], 4, v0
	v_cmp_lt_u32_e64 s[14:15], 63, v0
	v_lshlrev_b32_e32 v10, 2, v10
	v_cmp_eq_u32_e64 s[16:17], 0, v0
	v_lshlrev_b32_e32 v0, 2, v0
	v_cmp_eq_u32_e64 s[20:21], 0, v12
	v_cmp_lt_u32_e64 s[22:23], 1, v12
	v_add_u32_e32 v12, -4, v11
	s_movk_i32 s28, 0x64
	s_branch .LBB85_2
.LBB85_1:                               ;   in Loop: Header=BB85_2 Depth=1
	s_or_b64 exec, exec, s[24:25]
	ds_bpermute_b32 v13, v10, v13
	s_add_i32 s28, s28, -1
	s_cmp_lg_u32 s28, 0
	s_waitcnt lgkmcnt(0)
	v_cndmask_b32_e64 v13, v13, v14, s[18:19]
	v_add_f32_e32 v13, v9, v13
	v_cndmask_b32_e64 v9, v13, v9, s[16:17]
	v_add_f32_e32 v8, v8, v9
	v_add_f32_e32 v1, v1, v8
	s_cbranch_scc0 .LBB85_8
.LBB85_2:                               ; =>This Inner Loop Header: Depth=1
	s_waitcnt vmcnt(1)
	v_add_f32_e32 v13, v9, v8
	s_waitcnt vmcnt(0)
	v_add_f32_e32 v13, v1, v13
	s_nop 1
	v_mov_b32_dpp v14, v13 row_shr:1 row_mask:0xf bank_mask:0xf
	v_add_f32_e32 v14, v13, v14
	v_cndmask_b32_e32 v13, v14, v13, vcc
	s_nop 1
	v_mov_b32_dpp v14, v13 row_shr:2 row_mask:0xf bank_mask:0xf
	v_add_f32_e32 v14, v13, v14
	v_cndmask_b32_e64 v13, v13, v14, s[0:1]
	s_nop 1
	v_mov_b32_dpp v14, v13 row_shr:4 row_mask:0xf bank_mask:0xf
	v_add_f32_e32 v14, v13, v14
	v_cndmask_b32_e64 v13, v13, v14, s[2:3]
	;; [unrolled: 4-line block ×3, first 2 shown]
	s_nop 1
	v_mov_b32_dpp v14, v13 row_bcast:15 row_mask:0xf bank_mask:0xf
	v_add_f32_e32 v14, v13, v14
	v_cndmask_b32_e64 v13, v14, v13, s[6:7]
	s_nop 1
	v_mov_b32_dpp v14, v13 row_bcast:31 row_mask:0xf bank_mask:0xf
	v_add_f32_e32 v14, v13, v14
	v_cndmask_b32_e64 v13, v13, v14, s[8:9]
	s_and_saveexec_b64 s[24:25], s[10:11]
	s_cbranch_execz .LBB85_4
; %bb.3:                                ;   in Loop: Header=BB85_2 Depth=1
	ds_write_b32 v11, v13
.LBB85_4:                               ;   in Loop: Header=BB85_2 Depth=1
	s_or_b64 exec, exec, s[24:25]
	s_waitcnt lgkmcnt(0)
	s_barrier
	s_and_saveexec_b64 s[24:25], s[12:13]
	s_cbranch_execz .LBB85_6
; %bb.5:                                ;   in Loop: Header=BB85_2 Depth=1
	ds_read_b32 v14, v0
	s_waitcnt lgkmcnt(0)
	s_nop 0
	v_mov_b32_dpp v15, v14 row_shr:1 row_mask:0xf bank_mask:0xf
	v_add_f32_e32 v15, v14, v15
	v_cndmask_b32_e64 v14, v15, v14, s[20:21]
	s_nop 1
	v_mov_b32_dpp v15, v14 row_shr:2 row_mask:0xf bank_mask:0xf
	v_add_f32_e32 v15, v14, v15
	v_cndmask_b32_e64 v14, v14, v15, s[22:23]
	ds_write_b32 v0, v14
.LBB85_6:                               ;   in Loop: Header=BB85_2 Depth=1
	s_or_b64 exec, exec, s[24:25]
	s_waitcnt lgkmcnt(0)
	s_barrier
	s_waitcnt lgkmcnt(0)
                                        ; implicit-def: $vgpr14
	s_and_saveexec_b64 s[24:25], s[14:15]
	s_cbranch_execz .LBB85_1
; %bb.7:                                ;   in Loop: Header=BB85_2 Depth=1
	ds_read_b32 v14, v12
	s_waitcnt lgkmcnt(0)
	v_add_f32_e32 v13, v13, v14
	s_branch .LBB85_1
.LBB85_8:
	v_lshl_add_u64 v[2:3], v[2:3], 2, s[26:27]
	global_store_dword v[2:3], v9, off
	v_lshl_add_u64 v[2:3], v[4:5], 2, s[26:27]
	global_store_dword v[2:3], v8, off
	v_lshl_add_u64 v[2:3], v[6:7], 2, s[26:27]
	global_store_dword v[2:3], v1, off
	s_endpgm
	.section	.rodata,"a",@progbits
	.p2align	6, 0x0
	.amdhsa_kernel _Z6kernelI14inclusive_scanILN6hipcub18BlockScanAlgorithmE0EEfLj256ELj3ELj100EEvPKT0_PS4_S4_
		.amdhsa_group_segment_fixed_size 16
		.amdhsa_private_segment_fixed_size 0
		.amdhsa_kernarg_size 280
		.amdhsa_user_sgpr_count 2
		.amdhsa_user_sgpr_dispatch_ptr 0
		.amdhsa_user_sgpr_queue_ptr 0
		.amdhsa_user_sgpr_kernarg_segment_ptr 1
		.amdhsa_user_sgpr_dispatch_id 0
		.amdhsa_user_sgpr_kernarg_preload_length 0
		.amdhsa_user_sgpr_kernarg_preload_offset 0
		.amdhsa_user_sgpr_private_segment_size 0
		.amdhsa_uses_dynamic_stack 0
		.amdhsa_enable_private_segment 0
		.amdhsa_system_sgpr_workgroup_id_x 1
		.amdhsa_system_sgpr_workgroup_id_y 0
		.amdhsa_system_sgpr_workgroup_id_z 0
		.amdhsa_system_sgpr_workgroup_info 0
		.amdhsa_system_vgpr_workitem_id 0
		.amdhsa_next_free_vgpr 16
		.amdhsa_next_free_sgpr 29
		.amdhsa_accum_offset 16
		.amdhsa_reserve_vcc 1
		.amdhsa_float_round_mode_32 0
		.amdhsa_float_round_mode_16_64 0
		.amdhsa_float_denorm_mode_32 3
		.amdhsa_float_denorm_mode_16_64 3
		.amdhsa_dx10_clamp 1
		.amdhsa_ieee_mode 1
		.amdhsa_fp16_overflow 0
		.amdhsa_tg_split 0
		.amdhsa_exception_fp_ieee_invalid_op 0
		.amdhsa_exception_fp_denorm_src 0
		.amdhsa_exception_fp_ieee_div_zero 0
		.amdhsa_exception_fp_ieee_overflow 0
		.amdhsa_exception_fp_ieee_underflow 0
		.amdhsa_exception_fp_ieee_inexact 0
		.amdhsa_exception_int_div_zero 0
	.end_amdhsa_kernel
	.section	.text._Z6kernelI14inclusive_scanILN6hipcub18BlockScanAlgorithmE0EEfLj256ELj3ELj100EEvPKT0_PS4_S4_,"axG",@progbits,_Z6kernelI14inclusive_scanILN6hipcub18BlockScanAlgorithmE0EEfLj256ELj3ELj100EEvPKT0_PS4_S4_,comdat
.Lfunc_end85:
	.size	_Z6kernelI14inclusive_scanILN6hipcub18BlockScanAlgorithmE0EEfLj256ELj3ELj100EEvPKT0_PS4_S4_, .Lfunc_end85-_Z6kernelI14inclusive_scanILN6hipcub18BlockScanAlgorithmE0EEfLj256ELj3ELj100EEvPKT0_PS4_S4_
                                        ; -- End function
	.section	.AMDGPU.csdata,"",@progbits
; Kernel info:
; codeLenInByte = 708
; NumSgprs: 35
; NumVgprs: 16
; NumAgprs: 0
; TotalNumVgprs: 16
; ScratchSize: 0
; MemoryBound: 0
; FloatMode: 240
; IeeeMode: 1
; LDSByteSize: 16 bytes/workgroup (compile time only)
; SGPRBlocks: 4
; VGPRBlocks: 1
; NumSGPRsForWavesPerEU: 35
; NumVGPRsForWavesPerEU: 16
; AccumOffset: 16
; Occupancy: 8
; WaveLimiterHint : 0
; COMPUTE_PGM_RSRC2:SCRATCH_EN: 0
; COMPUTE_PGM_RSRC2:USER_SGPR: 2
; COMPUTE_PGM_RSRC2:TRAP_HANDLER: 0
; COMPUTE_PGM_RSRC2:TGID_X_EN: 1
; COMPUTE_PGM_RSRC2:TGID_Y_EN: 0
; COMPUTE_PGM_RSRC2:TGID_Z_EN: 0
; COMPUTE_PGM_RSRC2:TIDIG_COMP_CNT: 0
; COMPUTE_PGM_RSRC3_GFX90A:ACCUM_OFFSET: 3
; COMPUTE_PGM_RSRC3_GFX90A:TG_SPLIT: 0
	.section	.text._Z6kernelI14inclusive_scanILN6hipcub18BlockScanAlgorithmE0EEfLj256ELj4ELj100EEvPKT0_PS4_S4_,"axG",@progbits,_Z6kernelI14inclusive_scanILN6hipcub18BlockScanAlgorithmE0EEfLj256ELj4ELj100EEvPKT0_PS4_S4_,comdat
	.protected	_Z6kernelI14inclusive_scanILN6hipcub18BlockScanAlgorithmE0EEfLj256ELj4ELj100EEvPKT0_PS4_S4_ ; -- Begin function _Z6kernelI14inclusive_scanILN6hipcub18BlockScanAlgorithmE0EEfLj256ELj4ELj100EEvPKT0_PS4_S4_
	.globl	_Z6kernelI14inclusive_scanILN6hipcub18BlockScanAlgorithmE0EEfLj256ELj4ELj100EEvPKT0_PS4_S4_
	.p2align	8
	.type	_Z6kernelI14inclusive_scanILN6hipcub18BlockScanAlgorithmE0EEfLj256ELj4ELj100EEvPKT0_PS4_S4_,@function
_Z6kernelI14inclusive_scanILN6hipcub18BlockScanAlgorithmE0EEfLj256ELj4ELj100EEvPKT0_PS4_S4_: ; @_Z6kernelI14inclusive_scanILN6hipcub18BlockScanAlgorithmE0EEfLj256ELj4ELj100EEvPKT0_PS4_S4_
; %bb.0:
	s_load_dwordx4 s[24:27], s[0:1], 0x0
	s_load_dword s3, s[0:1], 0x24
	v_mov_b32_e32 v7, 0
	v_mbcnt_lo_u32_b32 v1, -1, 0
	v_mbcnt_hi_u32_b32 v9, -1, v1
	s_waitcnt lgkmcnt(0)
	v_mov_b32_e32 v2, s24
	s_and_b32 s0, s3, 0xffff
	s_mul_i32 s2, s2, s0
	v_mov_b32_e32 v3, s25
	v_add_lshl_u32 v6, s2, v0, 2
	v_lshl_add_u64 v[2:3], v[6:7], 2, v[2:3]
	global_load_dwordx4 v[2:5], v[2:3], off
	v_and_b32_e32 v1, 15, v9
	v_cmp_eq_u32_e32 vcc, 0, v1
	v_cmp_lt_u32_e64 s[0:1], 1, v1
	v_cmp_lt_u32_e64 s[2:3], 3, v1
	;; [unrolled: 1-line block ×3, first 2 shown]
	v_and_b32_e32 v1, 16, v9
	v_cmp_eq_u32_e64 s[6:7], 0, v1
	v_or_b32_e32 v1, 63, v0
	v_cmp_eq_u32_e64 s[10:11], v1, v0
	v_add_u32_e32 v1, -1, v9
	v_and_b32_e32 v8, 64, v9
	v_cmp_lt_i32_e64 s[16:17], v1, v8
	v_lshrrev_b32_e32 v8, 4, v0
	v_cmp_lt_u32_e64 s[8:9], 31, v9
	v_cndmask_b32_e64 v1, v1, v9, s[16:17]
	v_cmp_eq_u32_e64 s[18:19], 0, v9
	v_and_b32_e32 v8, 12, v8
	v_and_b32_e32 v9, 3, v9
	v_cmp_gt_u32_e64 s[12:13], 4, v0
	v_cmp_lt_u32_e64 s[14:15], 63, v0
	v_lshlrev_b32_e32 v1, 2, v1
	v_cmp_eq_u32_e64 s[16:17], 0, v0
	v_lshlrev_b32_e32 v0, 2, v0
	v_cmp_eq_u32_e64 s[20:21], 0, v9
	v_cmp_lt_u32_e64 s[22:23], 1, v9
	v_add_u32_e32 v9, -4, v8
	s_movk_i32 s28, 0x64
	s_branch .LBB86_2
.LBB86_1:                               ;   in Loop: Header=BB86_2 Depth=1
	s_or_b64 exec, exec, s[24:25]
	ds_bpermute_b32 v10, v1, v10
	s_add_i32 s28, s28, -1
	s_cmp_lg_u32 s28, 0
	s_waitcnt lgkmcnt(0)
	v_cndmask_b32_e64 v10, v10, v11, s[18:19]
	v_add_f32_e32 v10, v2, v10
	v_cndmask_b32_e64 v2, v10, v2, s[16:17]
	v_add_f32_e32 v3, v3, v2
	v_add_f32_e32 v4, v4, v3
	;; [unrolled: 1-line block ×3, first 2 shown]
	s_cbranch_scc0 .LBB86_8
.LBB86_2:                               ; =>This Inner Loop Header: Depth=1
	s_waitcnt vmcnt(0)
	v_add_f32_e32 v10, v2, v3
	v_add_f32_e32 v10, v4, v10
	;; [unrolled: 1-line block ×3, first 2 shown]
	s_nop 1
	v_mov_b32_dpp v11, v10 row_shr:1 row_mask:0xf bank_mask:0xf
	v_add_f32_e32 v11, v10, v11
	v_cndmask_b32_e32 v10, v11, v10, vcc
	s_nop 1
	v_mov_b32_dpp v11, v10 row_shr:2 row_mask:0xf bank_mask:0xf
	v_add_f32_e32 v11, v10, v11
	v_cndmask_b32_e64 v10, v10, v11, s[0:1]
	s_nop 1
	v_mov_b32_dpp v11, v10 row_shr:4 row_mask:0xf bank_mask:0xf
	v_add_f32_e32 v11, v10, v11
	v_cndmask_b32_e64 v10, v10, v11, s[2:3]
	s_nop 1
	v_mov_b32_dpp v11, v10 row_shr:8 row_mask:0xf bank_mask:0xf
	v_add_f32_e32 v11, v10, v11
	v_cndmask_b32_e64 v10, v10, v11, s[4:5]
	s_nop 1
	v_mov_b32_dpp v11, v10 row_bcast:15 row_mask:0xf bank_mask:0xf
	v_add_f32_e32 v11, v10, v11
	v_cndmask_b32_e64 v10, v11, v10, s[6:7]
	s_nop 1
	v_mov_b32_dpp v11, v10 row_bcast:31 row_mask:0xf bank_mask:0xf
	v_add_f32_e32 v11, v10, v11
	v_cndmask_b32_e64 v10, v10, v11, s[8:9]
	s_and_saveexec_b64 s[24:25], s[10:11]
	s_cbranch_execz .LBB86_4
; %bb.3:                                ;   in Loop: Header=BB86_2 Depth=1
	ds_write_b32 v8, v10
.LBB86_4:                               ;   in Loop: Header=BB86_2 Depth=1
	s_or_b64 exec, exec, s[24:25]
	s_waitcnt lgkmcnt(0)
	s_barrier
	s_and_saveexec_b64 s[24:25], s[12:13]
	s_cbranch_execz .LBB86_6
; %bb.5:                                ;   in Loop: Header=BB86_2 Depth=1
	ds_read_b32 v11, v0
	s_waitcnt lgkmcnt(0)
	s_nop 0
	v_mov_b32_dpp v12, v11 row_shr:1 row_mask:0xf bank_mask:0xf
	v_add_f32_e32 v12, v11, v12
	v_cndmask_b32_e64 v11, v12, v11, s[20:21]
	s_nop 1
	v_mov_b32_dpp v12, v11 row_shr:2 row_mask:0xf bank_mask:0xf
	v_add_f32_e32 v12, v11, v12
	v_cndmask_b32_e64 v11, v11, v12, s[22:23]
	ds_write_b32 v0, v11
.LBB86_6:                               ;   in Loop: Header=BB86_2 Depth=1
	s_or_b64 exec, exec, s[24:25]
	s_waitcnt lgkmcnt(0)
	s_barrier
	s_waitcnt lgkmcnt(0)
                                        ; implicit-def: $vgpr11
	s_and_saveexec_b64 s[24:25], s[14:15]
	s_cbranch_execz .LBB86_1
; %bb.7:                                ;   in Loop: Header=BB86_2 Depth=1
	ds_read_b32 v11, v9
	s_waitcnt lgkmcnt(0)
	v_add_f32_e32 v10, v10, v11
	s_branch .LBB86_1
.LBB86_8:
	v_mov_b32_e32 v0, s26
	v_mov_b32_e32 v1, s27
	v_lshl_add_u64 v[0:1], v[6:7], 2, v[0:1]
	global_store_dwordx4 v[0:1], v[2:5], off
	s_endpgm
	.section	.rodata,"a",@progbits
	.p2align	6, 0x0
	.amdhsa_kernel _Z6kernelI14inclusive_scanILN6hipcub18BlockScanAlgorithmE0EEfLj256ELj4ELj100EEvPKT0_PS4_S4_
		.amdhsa_group_segment_fixed_size 16
		.amdhsa_private_segment_fixed_size 0
		.amdhsa_kernarg_size 280
		.amdhsa_user_sgpr_count 2
		.amdhsa_user_sgpr_dispatch_ptr 0
		.amdhsa_user_sgpr_queue_ptr 0
		.amdhsa_user_sgpr_kernarg_segment_ptr 1
		.amdhsa_user_sgpr_dispatch_id 0
		.amdhsa_user_sgpr_kernarg_preload_length 0
		.amdhsa_user_sgpr_kernarg_preload_offset 0
		.amdhsa_user_sgpr_private_segment_size 0
		.amdhsa_uses_dynamic_stack 0
		.amdhsa_enable_private_segment 0
		.amdhsa_system_sgpr_workgroup_id_x 1
		.amdhsa_system_sgpr_workgroup_id_y 0
		.amdhsa_system_sgpr_workgroup_id_z 0
		.amdhsa_system_sgpr_workgroup_info 0
		.amdhsa_system_vgpr_workitem_id 0
		.amdhsa_next_free_vgpr 13
		.amdhsa_next_free_sgpr 29
		.amdhsa_accum_offset 16
		.amdhsa_reserve_vcc 1
		.amdhsa_float_round_mode_32 0
		.amdhsa_float_round_mode_16_64 0
		.amdhsa_float_denorm_mode_32 3
		.amdhsa_float_denorm_mode_16_64 3
		.amdhsa_dx10_clamp 1
		.amdhsa_ieee_mode 1
		.amdhsa_fp16_overflow 0
		.amdhsa_tg_split 0
		.amdhsa_exception_fp_ieee_invalid_op 0
		.amdhsa_exception_fp_denorm_src 0
		.amdhsa_exception_fp_ieee_div_zero 0
		.amdhsa_exception_fp_ieee_overflow 0
		.amdhsa_exception_fp_ieee_underflow 0
		.amdhsa_exception_fp_ieee_inexact 0
		.amdhsa_exception_int_div_zero 0
	.end_amdhsa_kernel
	.section	.text._Z6kernelI14inclusive_scanILN6hipcub18BlockScanAlgorithmE0EEfLj256ELj4ELj100EEvPKT0_PS4_S4_,"axG",@progbits,_Z6kernelI14inclusive_scanILN6hipcub18BlockScanAlgorithmE0EEfLj256ELj4ELj100EEvPKT0_PS4_S4_,comdat
.Lfunc_end86:
	.size	_Z6kernelI14inclusive_scanILN6hipcub18BlockScanAlgorithmE0EEfLj256ELj4ELj100EEvPKT0_PS4_S4_, .Lfunc_end86-_Z6kernelI14inclusive_scanILN6hipcub18BlockScanAlgorithmE0EEfLj256ELj4ELj100EEvPKT0_PS4_S4_
                                        ; -- End function
	.section	.AMDGPU.csdata,"",@progbits
; Kernel info:
; codeLenInByte = 644
; NumSgprs: 35
; NumVgprs: 13
; NumAgprs: 0
; TotalNumVgprs: 13
; ScratchSize: 0
; MemoryBound: 0
; FloatMode: 240
; IeeeMode: 1
; LDSByteSize: 16 bytes/workgroup (compile time only)
; SGPRBlocks: 4
; VGPRBlocks: 1
; NumSGPRsForWavesPerEU: 35
; NumVGPRsForWavesPerEU: 13
; AccumOffset: 16
; Occupancy: 8
; WaveLimiterHint : 0
; COMPUTE_PGM_RSRC2:SCRATCH_EN: 0
; COMPUTE_PGM_RSRC2:USER_SGPR: 2
; COMPUTE_PGM_RSRC2:TRAP_HANDLER: 0
; COMPUTE_PGM_RSRC2:TGID_X_EN: 1
; COMPUTE_PGM_RSRC2:TGID_Y_EN: 0
; COMPUTE_PGM_RSRC2:TGID_Z_EN: 0
; COMPUTE_PGM_RSRC2:TIDIG_COMP_CNT: 0
; COMPUTE_PGM_RSRC3_GFX90A:ACCUM_OFFSET: 3
; COMPUTE_PGM_RSRC3_GFX90A:TG_SPLIT: 0
	.section	.text._Z6kernelI14inclusive_scanILN6hipcub18BlockScanAlgorithmE0EEfLj256ELj8ELj100EEvPKT0_PS4_S4_,"axG",@progbits,_Z6kernelI14inclusive_scanILN6hipcub18BlockScanAlgorithmE0EEfLj256ELj8ELj100EEvPKT0_PS4_S4_,comdat
	.protected	_Z6kernelI14inclusive_scanILN6hipcub18BlockScanAlgorithmE0EEfLj256ELj8ELj100EEvPKT0_PS4_S4_ ; -- Begin function _Z6kernelI14inclusive_scanILN6hipcub18BlockScanAlgorithmE0EEfLj256ELj8ELj100EEvPKT0_PS4_S4_
	.globl	_Z6kernelI14inclusive_scanILN6hipcub18BlockScanAlgorithmE0EEfLj256ELj8ELj100EEvPKT0_PS4_S4_
	.p2align	8
	.type	_Z6kernelI14inclusive_scanILN6hipcub18BlockScanAlgorithmE0EEfLj256ELj8ELj100EEvPKT0_PS4_S4_,@function
_Z6kernelI14inclusive_scanILN6hipcub18BlockScanAlgorithmE0EEfLj256ELj8ELj100EEvPKT0_PS4_S4_: ; @_Z6kernelI14inclusive_scanILN6hipcub18BlockScanAlgorithmE0EEfLj256ELj8ELj100EEvPKT0_PS4_S4_
; %bb.0:
	s_load_dwordx4 s[24:27], s[0:1], 0x0
	s_load_dword s3, s[0:1], 0x24
	v_mov_b32_e32 v11, 0
	v_mbcnt_lo_u32_b32 v1, -1, 0
	v_cmp_gt_u32_e64 s[12:13], 4, v0
	s_waitcnt lgkmcnt(0)
	v_mov_b32_e32 v2, s24
	s_and_b32 s0, s3, 0xffff
	s_mul_i32 s2, s2, s0
	v_mov_b32_e32 v3, s25
	v_add_lshl_u32 v10, s2, v0, 3
	v_lshl_add_u64 v[12:13], v[10:11], 2, v[2:3]
	global_load_dwordx4 v[2:5], v[12:13], off
	global_load_dwordx4 v[6:9], v[12:13], off offset:16
	v_mbcnt_hi_u32_b32 v13, -1, v1
	v_and_b32_e32 v1, 15, v13
	v_cmp_eq_u32_e32 vcc, 0, v1
	v_cmp_lt_u32_e64 s[0:1], 1, v1
	v_cmp_lt_u32_e64 s[2:3], 3, v1
	;; [unrolled: 1-line block ×3, first 2 shown]
	v_and_b32_e32 v1, 16, v13
	v_cmp_eq_u32_e64 s[6:7], 0, v1
	v_or_b32_e32 v1, 63, v0
	v_cmp_eq_u32_e64 s[10:11], v1, v0
	v_add_u32_e32 v1, -1, v13
	v_and_b32_e32 v12, 64, v13
	v_cmp_lt_i32_e64 s[16:17], v1, v12
	v_lshrrev_b32_e32 v12, 4, v0
	v_cmp_lt_u32_e64 s[8:9], 31, v13
	v_cndmask_b32_e64 v1, v1, v13, s[16:17]
	v_cmp_eq_u32_e64 s[18:19], 0, v13
	v_and_b32_e32 v12, 12, v12
	v_and_b32_e32 v13, 3, v13
	v_cmp_lt_u32_e64 s[14:15], 63, v0
	v_lshlrev_b32_e32 v1, 2, v1
	v_cmp_eq_u32_e64 s[16:17], 0, v0
	v_lshlrev_b32_e32 v0, 2, v0
	v_cmp_eq_u32_e64 s[20:21], 0, v13
	v_cmp_lt_u32_e64 s[22:23], 1, v13
	v_add_u32_e32 v13, -4, v12
	s_movk_i32 s28, 0x64
	s_branch .LBB87_2
.LBB87_1:                               ;   in Loop: Header=BB87_2 Depth=1
	s_or_b64 exec, exec, s[24:25]
	ds_bpermute_b32 v14, v1, v14
	s_add_i32 s28, s28, -1
	s_cmp_lg_u32 s28, 0
	s_waitcnt lgkmcnt(0)
	v_cndmask_b32_e64 v14, v14, v15, s[18:19]
	v_add_f32_e32 v14, v2, v14
	v_cndmask_b32_e64 v2, v14, v2, s[16:17]
	v_add_f32_e32 v3, v3, v2
	v_add_f32_e32 v4, v4, v3
	;; [unrolled: 1-line block ×7, first 2 shown]
	s_cbranch_scc0 .LBB87_8
.LBB87_2:                               ; =>This Inner Loop Header: Depth=1
	s_waitcnt vmcnt(1)
	v_add_f32_e32 v14, v2, v3
	v_add_f32_e32 v14, v4, v14
	;; [unrolled: 1-line block ×3, first 2 shown]
	s_waitcnt vmcnt(0)
	v_add_f32_e32 v14, v6, v14
	v_add_f32_e32 v14, v7, v14
	;; [unrolled: 1-line block ×4, first 2 shown]
	s_nop 1
	v_mov_b32_dpp v15, v14 row_shr:1 row_mask:0xf bank_mask:0xf
	v_add_f32_e32 v15, v14, v15
	v_cndmask_b32_e32 v14, v15, v14, vcc
	s_nop 1
	v_mov_b32_dpp v15, v14 row_shr:2 row_mask:0xf bank_mask:0xf
	v_add_f32_e32 v15, v14, v15
	v_cndmask_b32_e64 v14, v14, v15, s[0:1]
	s_nop 1
	v_mov_b32_dpp v15, v14 row_shr:4 row_mask:0xf bank_mask:0xf
	v_add_f32_e32 v15, v14, v15
	v_cndmask_b32_e64 v14, v14, v15, s[2:3]
	;; [unrolled: 4-line block ×3, first 2 shown]
	s_nop 1
	v_mov_b32_dpp v15, v14 row_bcast:15 row_mask:0xf bank_mask:0xf
	v_add_f32_e32 v15, v14, v15
	v_cndmask_b32_e64 v14, v15, v14, s[6:7]
	s_nop 1
	v_mov_b32_dpp v15, v14 row_bcast:31 row_mask:0xf bank_mask:0xf
	v_add_f32_e32 v15, v14, v15
	v_cndmask_b32_e64 v14, v14, v15, s[8:9]
	s_and_saveexec_b64 s[24:25], s[10:11]
	s_cbranch_execz .LBB87_4
; %bb.3:                                ;   in Loop: Header=BB87_2 Depth=1
	ds_write_b32 v12, v14
.LBB87_4:                               ;   in Loop: Header=BB87_2 Depth=1
	s_or_b64 exec, exec, s[24:25]
	s_waitcnt lgkmcnt(0)
	s_barrier
	s_and_saveexec_b64 s[24:25], s[12:13]
	s_cbranch_execz .LBB87_6
; %bb.5:                                ;   in Loop: Header=BB87_2 Depth=1
	ds_read_b32 v15, v0
	s_waitcnt lgkmcnt(0)
	s_nop 0
	v_mov_b32_dpp v16, v15 row_shr:1 row_mask:0xf bank_mask:0xf
	v_add_f32_e32 v16, v15, v16
	v_cndmask_b32_e64 v15, v16, v15, s[20:21]
	s_nop 1
	v_mov_b32_dpp v16, v15 row_shr:2 row_mask:0xf bank_mask:0xf
	v_add_f32_e32 v16, v15, v16
	v_cndmask_b32_e64 v15, v15, v16, s[22:23]
	ds_write_b32 v0, v15
.LBB87_6:                               ;   in Loop: Header=BB87_2 Depth=1
	s_or_b64 exec, exec, s[24:25]
	s_waitcnt lgkmcnt(0)
	s_barrier
	s_waitcnt lgkmcnt(0)
                                        ; implicit-def: $vgpr15
	s_and_saveexec_b64 s[24:25], s[14:15]
	s_cbranch_execz .LBB87_1
; %bb.7:                                ;   in Loop: Header=BB87_2 Depth=1
	ds_read_b32 v15, v13
	s_waitcnt lgkmcnt(0)
	v_add_f32_e32 v14, v14, v15
	s_branch .LBB87_1
.LBB87_8:
	v_mov_b32_e32 v0, s26
	v_mov_b32_e32 v1, s27
	v_lshl_add_u64 v[10:11], v[10:11], 2, v[0:1]
	global_store_dwordx3 v[10:11], v[2:4], off
	v_mov_b32_e32 v0, v5
	v_mov_b32_e32 v1, v6
	;; [unrolled: 1-line block ×4, first 2 shown]
	global_store_dwordx4 v[10:11], v[0:3], off offset:12
	global_store_dword v[10:11], v9, off offset:28
	s_endpgm
	.section	.rodata,"a",@progbits
	.p2align	6, 0x0
	.amdhsa_kernel _Z6kernelI14inclusive_scanILN6hipcub18BlockScanAlgorithmE0EEfLj256ELj8ELj100EEvPKT0_PS4_S4_
		.amdhsa_group_segment_fixed_size 16
		.amdhsa_private_segment_fixed_size 0
		.amdhsa_kernarg_size 280
		.amdhsa_user_sgpr_count 2
		.amdhsa_user_sgpr_dispatch_ptr 0
		.amdhsa_user_sgpr_queue_ptr 0
		.amdhsa_user_sgpr_kernarg_segment_ptr 1
		.amdhsa_user_sgpr_dispatch_id 0
		.amdhsa_user_sgpr_kernarg_preload_length 0
		.amdhsa_user_sgpr_kernarg_preload_offset 0
		.amdhsa_user_sgpr_private_segment_size 0
		.amdhsa_uses_dynamic_stack 0
		.amdhsa_enable_private_segment 0
		.amdhsa_system_sgpr_workgroup_id_x 1
		.amdhsa_system_sgpr_workgroup_id_y 0
		.amdhsa_system_sgpr_workgroup_id_z 0
		.amdhsa_system_sgpr_workgroup_info 0
		.amdhsa_system_vgpr_workitem_id 0
		.amdhsa_next_free_vgpr 17
		.amdhsa_next_free_sgpr 29
		.amdhsa_accum_offset 20
		.amdhsa_reserve_vcc 1
		.amdhsa_float_round_mode_32 0
		.amdhsa_float_round_mode_16_64 0
		.amdhsa_float_denorm_mode_32 3
		.amdhsa_float_denorm_mode_16_64 3
		.amdhsa_dx10_clamp 1
		.amdhsa_ieee_mode 1
		.amdhsa_fp16_overflow 0
		.amdhsa_tg_split 0
		.amdhsa_exception_fp_ieee_invalid_op 0
		.amdhsa_exception_fp_denorm_src 0
		.amdhsa_exception_fp_ieee_div_zero 0
		.amdhsa_exception_fp_ieee_overflow 0
		.amdhsa_exception_fp_ieee_underflow 0
		.amdhsa_exception_fp_ieee_inexact 0
		.amdhsa_exception_int_div_zero 0
	.end_amdhsa_kernel
	.section	.text._Z6kernelI14inclusive_scanILN6hipcub18BlockScanAlgorithmE0EEfLj256ELj8ELj100EEvPKT0_PS4_S4_,"axG",@progbits,_Z6kernelI14inclusive_scanILN6hipcub18BlockScanAlgorithmE0EEfLj256ELj8ELj100EEvPKT0_PS4_S4_,comdat
.Lfunc_end87:
	.size	_Z6kernelI14inclusive_scanILN6hipcub18BlockScanAlgorithmE0EEfLj256ELj8ELj100EEvPKT0_PS4_S4_, .Lfunc_end87-_Z6kernelI14inclusive_scanILN6hipcub18BlockScanAlgorithmE0EEfLj256ELj8ELj100EEvPKT0_PS4_S4_
                                        ; -- End function
	.section	.AMDGPU.csdata,"",@progbits
; Kernel info:
; codeLenInByte = 720
; NumSgprs: 35
; NumVgprs: 17
; NumAgprs: 0
; TotalNumVgprs: 17
; ScratchSize: 0
; MemoryBound: 0
; FloatMode: 240
; IeeeMode: 1
; LDSByteSize: 16 bytes/workgroup (compile time only)
; SGPRBlocks: 4
; VGPRBlocks: 2
; NumSGPRsForWavesPerEU: 35
; NumVGPRsForWavesPerEU: 17
; AccumOffset: 20
; Occupancy: 8
; WaveLimiterHint : 0
; COMPUTE_PGM_RSRC2:SCRATCH_EN: 0
; COMPUTE_PGM_RSRC2:USER_SGPR: 2
; COMPUTE_PGM_RSRC2:TRAP_HANDLER: 0
; COMPUTE_PGM_RSRC2:TGID_X_EN: 1
; COMPUTE_PGM_RSRC2:TGID_Y_EN: 0
; COMPUTE_PGM_RSRC2:TGID_Z_EN: 0
; COMPUTE_PGM_RSRC2:TIDIG_COMP_CNT: 0
; COMPUTE_PGM_RSRC3_GFX90A:ACCUM_OFFSET: 4
; COMPUTE_PGM_RSRC3_GFX90A:TG_SPLIT: 0
	.section	.text._Z6kernelI14inclusive_scanILN6hipcub18BlockScanAlgorithmE0EEfLj256ELj11ELj100EEvPKT0_PS4_S4_,"axG",@progbits,_Z6kernelI14inclusive_scanILN6hipcub18BlockScanAlgorithmE0EEfLj256ELj11ELj100EEvPKT0_PS4_S4_,comdat
	.protected	_Z6kernelI14inclusive_scanILN6hipcub18BlockScanAlgorithmE0EEfLj256ELj11ELj100EEvPKT0_PS4_S4_ ; -- Begin function _Z6kernelI14inclusive_scanILN6hipcub18BlockScanAlgorithmE0EEfLj256ELj11ELj100EEvPKT0_PS4_S4_
	.globl	_Z6kernelI14inclusive_scanILN6hipcub18BlockScanAlgorithmE0EEfLj256ELj11ELj100EEvPKT0_PS4_S4_
	.p2align	8
	.type	_Z6kernelI14inclusive_scanILN6hipcub18BlockScanAlgorithmE0EEfLj256ELj11ELj100EEvPKT0_PS4_S4_,@function
_Z6kernelI14inclusive_scanILN6hipcub18BlockScanAlgorithmE0EEfLj256ELj11ELj100EEvPKT0_PS4_S4_: ; @_Z6kernelI14inclusive_scanILN6hipcub18BlockScanAlgorithmE0EEfLj256ELj11ELj100EEvPKT0_PS4_S4_
; %bb.0:
	s_load_dword s3, s[0:1], 0x24
	s_load_dwordx4 s[24:27], s[0:1], 0x0
	v_mov_b32_e32 v3, 0
	v_mov_b32_e32 v5, v3
	;; [unrolled: 1-line block ×3, first 2 shown]
	s_waitcnt lgkmcnt(0)
	s_and_b32 s0, s3, 0xffff
	s_mul_i32 s2, s2, s0
	v_add_u32_e32 v1, s2, v0
	v_mul_lo_u32 v2, v1, 11
	v_lshl_add_u64 v[18:19], v[2:3], 2, s[24:25]
	v_add_u32_e32 v4, 1, v2
	v_add_u32_e32 v6, 2, v2
	;; [unrolled: 1-line block ×3, first 2 shown]
	v_mov_b32_e32 v9, v3
	v_add_u32_e32 v10, 4, v2
	v_mov_b32_e32 v11, v3
	v_add_u32_e32 v12, 5, v2
	;; [unrolled: 2-line block ×4, first 2 shown]
	v_mov_b32_e32 v17, v3
	v_lshl_add_u64 v[20:21], v[4:5], 2, s[24:25]
	v_lshl_add_u64 v[22:23], v[6:7], 2, s[24:25]
	;; [unrolled: 1-line block ×7, first 2 shown]
	global_load_dword v30, v[18:19], off
	global_load_dword v29, v[20:21], off
	;; [unrolled: 1-line block ×8, first 2 shown]
	v_add_u32_e32 v18, 8, v2
	v_mov_b32_e32 v19, v3
	v_lshl_add_u64 v[34:35], v[18:19], 2, s[24:25]
	v_add_u32_e32 v20, 9, v2
	v_mov_b32_e32 v21, v3
	v_add_u32_e32 v22, 10, v2
	v_mov_b32_e32 v23, v3
	v_lshl_add_u64 v[36:37], v[20:21], 2, s[24:25]
	v_lshl_add_u64 v[38:39], v[22:23], 2, s[24:25]
	global_load_dword v33, v[34:35], off
	global_load_dword v32, v[36:37], off
	;; [unrolled: 1-line block ×3, first 2 shown]
	v_mbcnt_lo_u32_b32 v34, -1, 0
	v_mbcnt_hi_u32_b32 v36, -1, v34
	v_and_b32_e32 v34, 15, v36
	v_cmp_eq_u32_e32 vcc, 0, v34
	v_cmp_lt_u32_e64 s[0:1], 1, v34
	v_cmp_lt_u32_e64 s[2:3], 3, v34
	;; [unrolled: 1-line block ×3, first 2 shown]
	v_and_b32_e32 v34, 16, v36
	v_cmp_eq_u32_e64 s[6:7], 0, v34
	v_or_b32_e32 v34, 63, v0
	v_cmp_eq_u32_e64 s[10:11], v34, v0
	v_add_u32_e32 v34, -1, v36
	v_and_b32_e32 v35, 64, v36
	v_cmp_lt_i32_e64 s[16:17], v34, v35
	v_lshrrev_b32_e32 v35, 4, v0
	v_cmp_lt_u32_e64 s[8:9], 31, v36
	v_cndmask_b32_e64 v34, v34, v36, s[16:17]
	v_cmp_eq_u32_e64 s[18:19], 0, v36
	v_and_b32_e32 v35, 12, v35
	v_and_b32_e32 v36, 3, v36
	v_cmp_gt_u32_e64 s[12:13], 4, v0
	v_cmp_lt_u32_e64 s[14:15], 63, v0
	v_lshlrev_b32_e32 v34, 2, v34
	v_cmp_eq_u32_e64 s[16:17], 0, v0
	v_lshlrev_b32_e32 v0, 2, v0
	v_cmp_eq_u32_e64 s[20:21], 0, v36
	v_cmp_lt_u32_e64 s[22:23], 1, v36
	v_add_u32_e32 v36, -4, v35
	s_movk_i32 s28, 0x64
	s_branch .LBB88_2
.LBB88_1:                               ;   in Loop: Header=BB88_2 Depth=1
	s_or_b64 exec, exec, s[24:25]
	ds_bpermute_b32 v37, v34, v37
	s_add_i32 s28, s28, -1
	s_cmp_lg_u32 s28, 0
	s_waitcnt lgkmcnt(0)
	v_cndmask_b32_e64 v37, v37, v38, s[18:19]
	v_add_f32_e32 v37, v30, v37
	v_cndmask_b32_e64 v30, v37, v30, s[16:17]
	v_add_f32_e32 v29, v29, v30
	v_add_f32_e32 v28, v28, v29
	v_add_f32_e32 v27, v27, v28
	v_add_f32_e32 v26, v26, v27
	v_add_f32_e32 v25, v25, v26
	v_add_f32_e32 v24, v24, v25
	v_add_f32_e32 v1, v1, v24
	v_add_f32_e32 v33, v33, v1
	v_add_f32_e32 v32, v32, v33
	v_add_f32_e32 v31, v31, v32
	s_cbranch_scc0 .LBB88_8
.LBB88_2:                               ; =>This Inner Loop Header: Depth=1
	s_waitcnt vmcnt(9)
	v_add_f32_e32 v37, v29, v30
	s_waitcnt vmcnt(8)
	v_add_f32_e32 v37, v28, v37
	;; [unrolled: 2-line block ×10, first 2 shown]
	s_nop 1
	v_mov_b32_dpp v38, v37 row_shr:1 row_mask:0xf bank_mask:0xf
	v_add_f32_e32 v38, v37, v38
	v_cndmask_b32_e32 v37, v38, v37, vcc
	s_nop 1
	v_mov_b32_dpp v38, v37 row_shr:2 row_mask:0xf bank_mask:0xf
	v_add_f32_e32 v38, v37, v38
	v_cndmask_b32_e64 v37, v37, v38, s[0:1]
	s_nop 1
	v_mov_b32_dpp v38, v37 row_shr:4 row_mask:0xf bank_mask:0xf
	v_add_f32_e32 v38, v37, v38
	v_cndmask_b32_e64 v37, v37, v38, s[2:3]
	s_nop 1
	v_mov_b32_dpp v38, v37 row_shr:8 row_mask:0xf bank_mask:0xf
	v_add_f32_e32 v38, v37, v38
	v_cndmask_b32_e64 v37, v37, v38, s[4:5]
	s_nop 1
	v_mov_b32_dpp v38, v37 row_bcast:15 row_mask:0xf bank_mask:0xf
	v_add_f32_e32 v38, v37, v38
	v_cndmask_b32_e64 v37, v38, v37, s[6:7]
	s_nop 1
	v_mov_b32_dpp v38, v37 row_bcast:31 row_mask:0xf bank_mask:0xf
	v_add_f32_e32 v38, v37, v38
	v_cndmask_b32_e64 v37, v37, v38, s[8:9]
	s_and_saveexec_b64 s[24:25], s[10:11]
	s_cbranch_execz .LBB88_4
; %bb.3:                                ;   in Loop: Header=BB88_2 Depth=1
	ds_write_b32 v35, v37
.LBB88_4:                               ;   in Loop: Header=BB88_2 Depth=1
	s_or_b64 exec, exec, s[24:25]
	s_waitcnt lgkmcnt(0)
	s_barrier
	s_and_saveexec_b64 s[24:25], s[12:13]
	s_cbranch_execz .LBB88_6
; %bb.5:                                ;   in Loop: Header=BB88_2 Depth=1
	ds_read_b32 v38, v0
	s_waitcnt lgkmcnt(0)
	s_nop 0
	v_mov_b32_dpp v39, v38 row_shr:1 row_mask:0xf bank_mask:0xf
	v_add_f32_e32 v39, v38, v39
	v_cndmask_b32_e64 v38, v39, v38, s[20:21]
	s_nop 1
	v_mov_b32_dpp v39, v38 row_shr:2 row_mask:0xf bank_mask:0xf
	v_add_f32_e32 v39, v38, v39
	v_cndmask_b32_e64 v38, v38, v39, s[22:23]
	ds_write_b32 v0, v38
.LBB88_6:                               ;   in Loop: Header=BB88_2 Depth=1
	s_or_b64 exec, exec, s[24:25]
	s_waitcnt lgkmcnt(0)
	s_barrier
	s_waitcnt lgkmcnt(0)
                                        ; implicit-def: $vgpr38
	s_and_saveexec_b64 s[24:25], s[14:15]
	s_cbranch_execz .LBB88_1
; %bb.7:                                ;   in Loop: Header=BB88_2 Depth=1
	ds_read_b32 v38, v36
	s_waitcnt lgkmcnt(0)
	v_add_f32_e32 v37, v37, v38
	s_branch .LBB88_1
.LBB88_8:
	v_lshl_add_u64 v[2:3], v[2:3], 2, s[26:27]
	global_store_dword v[2:3], v30, off
	v_lshl_add_u64 v[2:3], v[4:5], 2, s[26:27]
	global_store_dword v[2:3], v29, off
	;; [unrolled: 2-line block ×11, first 2 shown]
	s_endpgm
	.section	.rodata,"a",@progbits
	.p2align	6, 0x0
	.amdhsa_kernel _Z6kernelI14inclusive_scanILN6hipcub18BlockScanAlgorithmE0EEfLj256ELj11ELj100EEvPKT0_PS4_S4_
		.amdhsa_group_segment_fixed_size 16
		.amdhsa_private_segment_fixed_size 0
		.amdhsa_kernarg_size 280
		.amdhsa_user_sgpr_count 2
		.amdhsa_user_sgpr_dispatch_ptr 0
		.amdhsa_user_sgpr_queue_ptr 0
		.amdhsa_user_sgpr_kernarg_segment_ptr 1
		.amdhsa_user_sgpr_dispatch_id 0
		.amdhsa_user_sgpr_kernarg_preload_length 0
		.amdhsa_user_sgpr_kernarg_preload_offset 0
		.amdhsa_user_sgpr_private_segment_size 0
		.amdhsa_uses_dynamic_stack 0
		.amdhsa_enable_private_segment 0
		.amdhsa_system_sgpr_workgroup_id_x 1
		.amdhsa_system_sgpr_workgroup_id_y 0
		.amdhsa_system_sgpr_workgroup_id_z 0
		.amdhsa_system_sgpr_workgroup_info 0
		.amdhsa_system_vgpr_workitem_id 0
		.amdhsa_next_free_vgpr 42
		.amdhsa_next_free_sgpr 29
		.amdhsa_accum_offset 44
		.amdhsa_reserve_vcc 1
		.amdhsa_float_round_mode_32 0
		.amdhsa_float_round_mode_16_64 0
		.amdhsa_float_denorm_mode_32 3
		.amdhsa_float_denorm_mode_16_64 3
		.amdhsa_dx10_clamp 1
		.amdhsa_ieee_mode 1
		.amdhsa_fp16_overflow 0
		.amdhsa_tg_split 0
		.amdhsa_exception_fp_ieee_invalid_op 0
		.amdhsa_exception_fp_denorm_src 0
		.amdhsa_exception_fp_ieee_div_zero 0
		.amdhsa_exception_fp_ieee_overflow 0
		.amdhsa_exception_fp_ieee_underflow 0
		.amdhsa_exception_fp_ieee_inexact 0
		.amdhsa_exception_int_div_zero 0
	.end_amdhsa_kernel
	.section	.text._Z6kernelI14inclusive_scanILN6hipcub18BlockScanAlgorithmE0EEfLj256ELj11ELj100EEvPKT0_PS4_S4_,"axG",@progbits,_Z6kernelI14inclusive_scanILN6hipcub18BlockScanAlgorithmE0EEfLj256ELj11ELj100EEvPKT0_PS4_S4_,comdat
.Lfunc_end88:
	.size	_Z6kernelI14inclusive_scanILN6hipcub18BlockScanAlgorithmE0EEfLj256ELj11ELj100EEvPKT0_PS4_S4_, .Lfunc_end88-_Z6kernelI14inclusive_scanILN6hipcub18BlockScanAlgorithmE0EEfLj256ELj11ELj100EEvPKT0_PS4_S4_
                                        ; -- End function
	.section	.AMDGPU.csdata,"",@progbits
; Kernel info:
; codeLenInByte = 1124
; NumSgprs: 35
; NumVgprs: 42
; NumAgprs: 0
; TotalNumVgprs: 42
; ScratchSize: 0
; MemoryBound: 0
; FloatMode: 240
; IeeeMode: 1
; LDSByteSize: 16 bytes/workgroup (compile time only)
; SGPRBlocks: 4
; VGPRBlocks: 5
; NumSGPRsForWavesPerEU: 35
; NumVGPRsForWavesPerEU: 42
; AccumOffset: 44
; Occupancy: 8
; WaveLimiterHint : 0
; COMPUTE_PGM_RSRC2:SCRATCH_EN: 0
; COMPUTE_PGM_RSRC2:USER_SGPR: 2
; COMPUTE_PGM_RSRC2:TRAP_HANDLER: 0
; COMPUTE_PGM_RSRC2:TGID_X_EN: 1
; COMPUTE_PGM_RSRC2:TGID_Y_EN: 0
; COMPUTE_PGM_RSRC2:TGID_Z_EN: 0
; COMPUTE_PGM_RSRC2:TIDIG_COMP_CNT: 0
; COMPUTE_PGM_RSRC3_GFX90A:ACCUM_OFFSET: 10
; COMPUTE_PGM_RSRC3_GFX90A:TG_SPLIT: 0
	.section	.text._Z6kernelI14inclusive_scanILN6hipcub18BlockScanAlgorithmE0EEfLj256ELj16ELj100EEvPKT0_PS4_S4_,"axG",@progbits,_Z6kernelI14inclusive_scanILN6hipcub18BlockScanAlgorithmE0EEfLj256ELj16ELj100EEvPKT0_PS4_S4_,comdat
	.protected	_Z6kernelI14inclusive_scanILN6hipcub18BlockScanAlgorithmE0EEfLj256ELj16ELj100EEvPKT0_PS4_S4_ ; -- Begin function _Z6kernelI14inclusive_scanILN6hipcub18BlockScanAlgorithmE0EEfLj256ELj16ELj100EEvPKT0_PS4_S4_
	.globl	_Z6kernelI14inclusive_scanILN6hipcub18BlockScanAlgorithmE0EEfLj256ELj16ELj100EEvPKT0_PS4_S4_
	.p2align	8
	.type	_Z6kernelI14inclusive_scanILN6hipcub18BlockScanAlgorithmE0EEfLj256ELj16ELj100EEvPKT0_PS4_S4_,@function
_Z6kernelI14inclusive_scanILN6hipcub18BlockScanAlgorithmE0EEfLj256ELj16ELj100EEvPKT0_PS4_S4_: ; @_Z6kernelI14inclusive_scanILN6hipcub18BlockScanAlgorithmE0EEfLj256ELj16ELj100EEvPKT0_PS4_S4_
; %bb.0:
	s_load_dwordx4 s[24:27], s[0:1], 0x0
	s_load_dword s3, s[0:1], 0x24
	v_mov_b32_e32 v19, 0
	v_mbcnt_lo_u32_b32 v1, -1, 0
	v_cmp_gt_u32_e64 s[12:13], 4, v0
	s_waitcnt lgkmcnt(0)
	v_mov_b32_e32 v2, s24
	s_and_b32 s0, s3, 0xffff
	s_mul_i32 s2, s2, s0
	v_mov_b32_e32 v3, s25
	v_add_lshl_u32 v18, s2, v0, 4
	v_lshl_add_u64 v[20:21], v[18:19], 2, v[2:3]
	global_load_dwordx4 v[2:5], v[20:21], off offset:48
	global_load_dwordx4 v[6:9], v[20:21], off offset:32
	global_load_dwordx4 v[14:17], v[20:21], off
	global_load_dwordx4 v[10:13], v[20:21], off offset:16
	v_mbcnt_hi_u32_b32 v21, -1, v1
	v_and_b32_e32 v1, 15, v21
	v_cmp_eq_u32_e32 vcc, 0, v1
	v_cmp_lt_u32_e64 s[0:1], 1, v1
	v_cmp_lt_u32_e64 s[2:3], 3, v1
	;; [unrolled: 1-line block ×3, first 2 shown]
	v_and_b32_e32 v1, 16, v21
	v_cmp_eq_u32_e64 s[6:7], 0, v1
	v_or_b32_e32 v1, 63, v0
	v_cmp_eq_u32_e64 s[10:11], v1, v0
	v_add_u32_e32 v1, -1, v21
	v_and_b32_e32 v20, 64, v21
	v_cmp_lt_i32_e64 s[16:17], v1, v20
	v_lshrrev_b32_e32 v20, 4, v0
	v_cmp_lt_u32_e64 s[8:9], 31, v21
	v_cndmask_b32_e64 v1, v1, v21, s[16:17]
	v_cmp_eq_u32_e64 s[18:19], 0, v21
	v_and_b32_e32 v20, 12, v20
	v_and_b32_e32 v21, 3, v21
	v_cmp_lt_u32_e64 s[14:15], 63, v0
	v_lshlrev_b32_e32 v1, 2, v1
	v_cmp_eq_u32_e64 s[16:17], 0, v0
	v_lshlrev_b32_e32 v0, 2, v0
	v_cmp_eq_u32_e64 s[20:21], 0, v21
	v_cmp_lt_u32_e64 s[22:23], 1, v21
	v_add_u32_e32 v21, -4, v20
	s_movk_i32 s28, 0x64
	s_branch .LBB89_2
.LBB89_1:                               ;   in Loop: Header=BB89_2 Depth=1
	s_or_b64 exec, exec, s[24:25]
	ds_bpermute_b32 v22, v1, v22
	s_add_i32 s28, s28, -1
	s_cmp_lg_u32 s28, 0
	s_waitcnt lgkmcnt(0)
	v_cndmask_b32_e64 v22, v22, v23, s[18:19]
	v_add_f32_e32 v22, v14, v22
	v_cndmask_b32_e64 v14, v22, v14, s[16:17]
	v_add_f32_e32 v15, v15, v14
	v_add_f32_e32 v16, v16, v15
	;; [unrolled: 1-line block ×15, first 2 shown]
	s_cbranch_scc0 .LBB89_8
.LBB89_2:                               ; =>This Inner Loop Header: Depth=1
	s_waitcnt vmcnt(1)
	v_add_f32_e32 v22, v15, v14
	v_add_f32_e32 v22, v16, v22
	;; [unrolled: 1-line block ×3, first 2 shown]
	s_waitcnt vmcnt(0)
	v_add_f32_e32 v22, v10, v22
	v_add_f32_e32 v22, v11, v22
	;; [unrolled: 1-line block ×12, first 2 shown]
	s_nop 1
	v_mov_b32_dpp v23, v22 row_shr:1 row_mask:0xf bank_mask:0xf
	v_add_f32_e32 v23, v22, v23
	v_cndmask_b32_e32 v22, v23, v22, vcc
	s_nop 1
	v_mov_b32_dpp v23, v22 row_shr:2 row_mask:0xf bank_mask:0xf
	v_add_f32_e32 v23, v22, v23
	v_cndmask_b32_e64 v22, v22, v23, s[0:1]
	s_nop 1
	v_mov_b32_dpp v23, v22 row_shr:4 row_mask:0xf bank_mask:0xf
	v_add_f32_e32 v23, v22, v23
	v_cndmask_b32_e64 v22, v22, v23, s[2:3]
	s_nop 1
	v_mov_b32_dpp v23, v22 row_shr:8 row_mask:0xf bank_mask:0xf
	v_add_f32_e32 v23, v22, v23
	v_cndmask_b32_e64 v22, v22, v23, s[4:5]
	s_nop 1
	v_mov_b32_dpp v23, v22 row_bcast:15 row_mask:0xf bank_mask:0xf
	v_add_f32_e32 v23, v22, v23
	v_cndmask_b32_e64 v22, v23, v22, s[6:7]
	s_nop 1
	v_mov_b32_dpp v23, v22 row_bcast:31 row_mask:0xf bank_mask:0xf
	v_add_f32_e32 v23, v22, v23
	v_cndmask_b32_e64 v22, v22, v23, s[8:9]
	s_and_saveexec_b64 s[24:25], s[10:11]
	s_cbranch_execz .LBB89_4
; %bb.3:                                ;   in Loop: Header=BB89_2 Depth=1
	ds_write_b32 v20, v22
.LBB89_4:                               ;   in Loop: Header=BB89_2 Depth=1
	s_or_b64 exec, exec, s[24:25]
	s_waitcnt lgkmcnt(0)
	s_barrier
	s_and_saveexec_b64 s[24:25], s[12:13]
	s_cbranch_execz .LBB89_6
; %bb.5:                                ;   in Loop: Header=BB89_2 Depth=1
	ds_read_b32 v23, v0
	s_waitcnt lgkmcnt(0)
	s_nop 0
	v_mov_b32_dpp v24, v23 row_shr:1 row_mask:0xf bank_mask:0xf
	v_add_f32_e32 v24, v23, v24
	v_cndmask_b32_e64 v23, v24, v23, s[20:21]
	s_nop 1
	v_mov_b32_dpp v24, v23 row_shr:2 row_mask:0xf bank_mask:0xf
	v_add_f32_e32 v24, v23, v24
	v_cndmask_b32_e64 v23, v23, v24, s[22:23]
	ds_write_b32 v0, v23
.LBB89_6:                               ;   in Loop: Header=BB89_2 Depth=1
	s_or_b64 exec, exec, s[24:25]
	s_waitcnt lgkmcnt(0)
	s_barrier
	s_waitcnt lgkmcnt(0)
                                        ; implicit-def: $vgpr23
	s_and_saveexec_b64 s[24:25], s[14:15]
	s_cbranch_execz .LBB89_1
; %bb.7:                                ;   in Loop: Header=BB89_2 Depth=1
	ds_read_b32 v23, v21
	s_waitcnt lgkmcnt(0)
	v_add_f32_e32 v22, v22, v23
	s_branch .LBB89_1
.LBB89_8:
	v_mov_b32_e32 v0, s26
	v_mov_b32_e32 v1, s27
	v_lshl_add_u64 v[0:1], v[18:19], 2, v[0:1]
	global_store_dwordx4 v[0:1], v[14:17], off
	global_store_dwordx4 v[0:1], v[10:13], off offset:16
	global_store_dwordx4 v[0:1], v[6:9], off offset:32
	;; [unrolled: 1-line block ×3, first 2 shown]
	s_endpgm
	.section	.rodata,"a",@progbits
	.p2align	6, 0x0
	.amdhsa_kernel _Z6kernelI14inclusive_scanILN6hipcub18BlockScanAlgorithmE0EEfLj256ELj16ELj100EEvPKT0_PS4_S4_
		.amdhsa_group_segment_fixed_size 16
		.amdhsa_private_segment_fixed_size 0
		.amdhsa_kernarg_size 280
		.amdhsa_user_sgpr_count 2
		.amdhsa_user_sgpr_dispatch_ptr 0
		.amdhsa_user_sgpr_queue_ptr 0
		.amdhsa_user_sgpr_kernarg_segment_ptr 1
		.amdhsa_user_sgpr_dispatch_id 0
		.amdhsa_user_sgpr_kernarg_preload_length 0
		.amdhsa_user_sgpr_kernarg_preload_offset 0
		.amdhsa_user_sgpr_private_segment_size 0
		.amdhsa_uses_dynamic_stack 0
		.amdhsa_enable_private_segment 0
		.amdhsa_system_sgpr_workgroup_id_x 1
		.amdhsa_system_sgpr_workgroup_id_y 0
		.amdhsa_system_sgpr_workgroup_id_z 0
		.amdhsa_system_sgpr_workgroup_info 0
		.amdhsa_system_vgpr_workitem_id 0
		.amdhsa_next_free_vgpr 25
		.amdhsa_next_free_sgpr 29
		.amdhsa_accum_offset 28
		.amdhsa_reserve_vcc 1
		.amdhsa_float_round_mode_32 0
		.amdhsa_float_round_mode_16_64 0
		.amdhsa_float_denorm_mode_32 3
		.amdhsa_float_denorm_mode_16_64 3
		.amdhsa_dx10_clamp 1
		.amdhsa_ieee_mode 1
		.amdhsa_fp16_overflow 0
		.amdhsa_tg_split 0
		.amdhsa_exception_fp_ieee_invalid_op 0
		.amdhsa_exception_fp_denorm_src 0
		.amdhsa_exception_fp_ieee_div_zero 0
		.amdhsa_exception_fp_ieee_overflow 0
		.amdhsa_exception_fp_ieee_underflow 0
		.amdhsa_exception_fp_ieee_inexact 0
		.amdhsa_exception_int_div_zero 0
	.end_amdhsa_kernel
	.section	.text._Z6kernelI14inclusive_scanILN6hipcub18BlockScanAlgorithmE0EEfLj256ELj16ELj100EEvPKT0_PS4_S4_,"axG",@progbits,_Z6kernelI14inclusive_scanILN6hipcub18BlockScanAlgorithmE0EEfLj256ELj16ELj100EEvPKT0_PS4_S4_,comdat
.Lfunc_end89:
	.size	_Z6kernelI14inclusive_scanILN6hipcub18BlockScanAlgorithmE0EEfLj256ELj16ELj100EEvPKT0_PS4_S4_, .Lfunc_end89-_Z6kernelI14inclusive_scanILN6hipcub18BlockScanAlgorithmE0EEfLj256ELj16ELj100EEvPKT0_PS4_S4_
                                        ; -- End function
	.section	.AMDGPU.csdata,"",@progbits
; Kernel info:
; codeLenInByte = 792
; NumSgprs: 35
; NumVgprs: 25
; NumAgprs: 0
; TotalNumVgprs: 25
; ScratchSize: 0
; MemoryBound: 0
; FloatMode: 240
; IeeeMode: 1
; LDSByteSize: 16 bytes/workgroup (compile time only)
; SGPRBlocks: 4
; VGPRBlocks: 3
; NumSGPRsForWavesPerEU: 35
; NumVGPRsForWavesPerEU: 25
; AccumOffset: 28
; Occupancy: 8
; WaveLimiterHint : 0
; COMPUTE_PGM_RSRC2:SCRATCH_EN: 0
; COMPUTE_PGM_RSRC2:USER_SGPR: 2
; COMPUTE_PGM_RSRC2:TRAP_HANDLER: 0
; COMPUTE_PGM_RSRC2:TGID_X_EN: 1
; COMPUTE_PGM_RSRC2:TGID_Y_EN: 0
; COMPUTE_PGM_RSRC2:TGID_Z_EN: 0
; COMPUTE_PGM_RSRC2:TIDIG_COMP_CNT: 0
; COMPUTE_PGM_RSRC3_GFX90A:ACCUM_OFFSET: 6
; COMPUTE_PGM_RSRC3_GFX90A:TG_SPLIT: 0
	.section	.text._Z6kernelI14inclusive_scanILN6hipcub18BlockScanAlgorithmE0EEdLj256ELj1ELj100EEvPKT0_PS4_S4_,"axG",@progbits,_Z6kernelI14inclusive_scanILN6hipcub18BlockScanAlgorithmE0EEdLj256ELj1ELj100EEvPKT0_PS4_S4_,comdat
	.protected	_Z6kernelI14inclusive_scanILN6hipcub18BlockScanAlgorithmE0EEdLj256ELj1ELj100EEvPKT0_PS4_S4_ ; -- Begin function _Z6kernelI14inclusive_scanILN6hipcub18BlockScanAlgorithmE0EEdLj256ELj1ELj100EEvPKT0_PS4_S4_
	.globl	_Z6kernelI14inclusive_scanILN6hipcub18BlockScanAlgorithmE0EEdLj256ELj1ELj100EEvPKT0_PS4_S4_
	.p2align	8
	.type	_Z6kernelI14inclusive_scanILN6hipcub18BlockScanAlgorithmE0EEdLj256ELj1ELj100EEvPKT0_PS4_S4_,@function
_Z6kernelI14inclusive_scanILN6hipcub18BlockScanAlgorithmE0EEdLj256ELj1ELj100EEvPKT0_PS4_S4_: ; @_Z6kernelI14inclusive_scanILN6hipcub18BlockScanAlgorithmE0EEdLj256ELj1ELj100EEvPKT0_PS4_S4_
; %bb.0:
	s_load_dwordx4 s[20:23], s[0:1], 0x0
	s_load_dword s3, s[0:1], 0x24
	v_mov_b32_e32 v3, 0
	v_mbcnt_lo_u32_b32 v1, -1, 0
	v_mbcnt_hi_u32_b32 v6, -1, v1
	s_waitcnt lgkmcnt(0)
	v_mov_b32_e32 v4, s20
	s_and_b32 s0, s3, 0xffff
	s_mul_i32 s2, s2, s0
	v_mov_b32_e32 v5, s21
	v_add_u32_e32 v2, s2, v0
	v_lshl_add_u64 v[4:5], v[2:3], 3, v[4:5]
	global_load_dwordx2 v[4:5], v[4:5], off
	v_and_b32_e32 v1, 15, v6
	v_cmp_eq_u32_e32 vcc, 0, v1
	v_cmp_lt_u32_e64 s[0:1], 1, v1
	v_cmp_lt_u32_e64 s[2:3], 3, v1
	;; [unrolled: 1-line block ×3, first 2 shown]
	v_and_b32_e32 v1, 16, v6
	v_cmp_eq_u32_e64 s[6:7], 0, v1
	v_or_b32_e32 v1, 63, v0
	v_cmp_eq_u32_e64 s[10:11], v1, v0
	v_lshrrev_b32_e32 v1, 3, v0
	v_cmp_eq_u32_e64 s[8:9], 0, v6
	v_cmp_lt_u32_e64 s[16:17], 31, v6
	v_and_b32_e32 v1, 24, v1
	v_and_b32_e32 v6, 3, v6
	v_cmp_gt_u32_e64 s[12:13], 4, v0
	v_cmp_lt_u32_e64 s[14:15], 63, v0
	v_lshlrev_b32_e32 v0, 3, v0
	v_cmp_eq_u32_e64 s[18:19], 0, v6
	v_cmp_lt_u32_e64 s[20:21], 1, v6
	v_add_u32_e32 v6, -8, v1
	s_movk_i32 s26, 0x64
	s_branch .LBB90_2
.LBB90_1:                               ;   in Loop: Header=BB90_2 Depth=1
	s_or_b64 exec, exec, s[24:25]
	s_add_i32 s26, s26, -1
	s_cmp_lg_u32 s26, 0
	s_cbranch_scc0 .LBB90_8
.LBB90_2:                               ; =>This Inner Loop Header: Depth=1
	s_waitcnt vmcnt(0)
	v_mov_b32_dpp v8, v4 row_shr:1 row_mask:0xf bank_mask:0xf
	v_mov_b32_dpp v9, v5 row_shr:1 row_mask:0xf bank_mask:0xf
	v_add_f64 v[8:9], v[4:5], v[8:9]
	v_cndmask_b32_e32 v8, v8, v4, vcc
	v_cndmask_b32_e32 v9, v9, v5, vcc
	s_nop 0
	v_mov_b32_dpp v10, v8 row_shr:2 row_mask:0xf bank_mask:0xf
	v_mov_b32_dpp v11, v9 row_shr:2 row_mask:0xf bank_mask:0xf
	v_add_f64 v[10:11], v[8:9], v[10:11]
	v_cndmask_b32_e64 v8, v8, v10, s[0:1]
	v_cndmask_b32_e64 v9, v9, v11, s[0:1]
	s_nop 0
	v_mov_b32_dpp v10, v8 row_shr:4 row_mask:0xf bank_mask:0xf
	v_mov_b32_dpp v11, v9 row_shr:4 row_mask:0xf bank_mask:0xf
	v_add_f64 v[10:11], v[8:9], v[10:11]
	v_cndmask_b32_e64 v8, v8, v10, s[2:3]
	v_cndmask_b32_e64 v9, v9, v11, s[2:3]
	;; [unrolled: 6-line block ×3, first 2 shown]
	s_nop 0
	v_mov_b32_dpp v10, v8 row_bcast:15 row_mask:0xf bank_mask:0xf
	v_mov_b32_dpp v11, v9 row_bcast:15 row_mask:0xf bank_mask:0xf
	v_add_f64 v[10:11], v[8:9], v[10:11]
	v_cndmask_b32_e64 v8, v10, v8, s[6:7]
	v_cndmask_b32_e64 v9, v11, v9, s[6:7]
	s_nop 0
	v_mov_b32_dpp v10, v8 row_bcast:31 row_mask:0xf bank_mask:0xf
	v_mov_b32_dpp v11, v9 row_bcast:31 row_mask:0xf bank_mask:0xf
	v_add_f64 v[10:11], v[8:9], v[10:11]
	v_cndmask_b32_e64 v7, v8, v10, s[16:17]
	v_cndmask_b32_e64 v8, v9, v11, s[16:17]
	;; [unrolled: 1-line block ×4, first 2 shown]
	s_and_saveexec_b64 s[24:25], s[10:11]
	s_cbranch_execz .LBB90_4
; %bb.3:                                ;   in Loop: Header=BB90_2 Depth=1
	ds_write_b64 v1, v[4:5]
.LBB90_4:                               ;   in Loop: Header=BB90_2 Depth=1
	s_or_b64 exec, exec, s[24:25]
	s_waitcnt lgkmcnt(0)
	s_barrier
	s_and_saveexec_b64 s[24:25], s[12:13]
	s_cbranch_execz .LBB90_6
; %bb.5:                                ;   in Loop: Header=BB90_2 Depth=1
	ds_read_b64 v[8:9], v0
	s_waitcnt lgkmcnt(0)
	s_nop 0
	v_mov_b32_dpp v10, v8 row_shr:1 row_mask:0xf bank_mask:0xf
	v_mov_b32_dpp v11, v9 row_shr:1 row_mask:0xf bank_mask:0xf
	v_add_f64 v[10:11], v[8:9], v[10:11]
	v_cndmask_b32_e64 v9, v11, v9, s[18:19]
	v_cndmask_b32_e64 v8, v10, v8, s[18:19]
	s_nop 0
	v_mov_b32_dpp v11, v9 row_shr:2 row_mask:0xf bank_mask:0xf
	v_mov_b32_dpp v10, v8 row_shr:2 row_mask:0xf bank_mask:0xf
	v_add_f64 v[10:11], v[8:9], v[10:11]
	v_cndmask_b32_e64 v9, v9, v11, s[20:21]
	v_cndmask_b32_e64 v8, v8, v10, s[20:21]
	ds_write_b64 v0, v[8:9]
.LBB90_6:                               ;   in Loop: Header=BB90_2 Depth=1
	s_or_b64 exec, exec, s[24:25]
	s_waitcnt lgkmcnt(0)
	s_barrier
	s_and_saveexec_b64 s[24:25], s[14:15]
	s_cbranch_execz .LBB90_1
; %bb.7:                                ;   in Loop: Header=BB90_2 Depth=1
	ds_read_b64 v[8:9], v6
	s_waitcnt lgkmcnt(0)
	v_add_f64 v[4:5], v[4:5], v[8:9]
	s_branch .LBB90_1
.LBB90_8:
	v_mov_b32_e32 v0, s22
	v_mov_b32_e32 v1, s23
	v_lshl_add_u64 v[0:1], v[2:3], 3, v[0:1]
	global_store_dwordx2 v[0:1], v[4:5], off
	s_endpgm
	.section	.rodata,"a",@progbits
	.p2align	6, 0x0
	.amdhsa_kernel _Z6kernelI14inclusive_scanILN6hipcub18BlockScanAlgorithmE0EEdLj256ELj1ELj100EEvPKT0_PS4_S4_
		.amdhsa_group_segment_fixed_size 32
		.amdhsa_private_segment_fixed_size 0
		.amdhsa_kernarg_size 280
		.amdhsa_user_sgpr_count 2
		.amdhsa_user_sgpr_dispatch_ptr 0
		.amdhsa_user_sgpr_queue_ptr 0
		.amdhsa_user_sgpr_kernarg_segment_ptr 1
		.amdhsa_user_sgpr_dispatch_id 0
		.amdhsa_user_sgpr_kernarg_preload_length 0
		.amdhsa_user_sgpr_kernarg_preload_offset 0
		.amdhsa_user_sgpr_private_segment_size 0
		.amdhsa_uses_dynamic_stack 0
		.amdhsa_enable_private_segment 0
		.amdhsa_system_sgpr_workgroup_id_x 1
		.amdhsa_system_sgpr_workgroup_id_y 0
		.amdhsa_system_sgpr_workgroup_id_z 0
		.amdhsa_system_sgpr_workgroup_info 0
		.amdhsa_system_vgpr_workitem_id 0
		.amdhsa_next_free_vgpr 12
		.amdhsa_next_free_sgpr 27
		.amdhsa_accum_offset 12
		.amdhsa_reserve_vcc 1
		.amdhsa_float_round_mode_32 0
		.amdhsa_float_round_mode_16_64 0
		.amdhsa_float_denorm_mode_32 3
		.amdhsa_float_denorm_mode_16_64 3
		.amdhsa_dx10_clamp 1
		.amdhsa_ieee_mode 1
		.amdhsa_fp16_overflow 0
		.amdhsa_tg_split 0
		.amdhsa_exception_fp_ieee_invalid_op 0
		.amdhsa_exception_fp_denorm_src 0
		.amdhsa_exception_fp_ieee_div_zero 0
		.amdhsa_exception_fp_ieee_overflow 0
		.amdhsa_exception_fp_ieee_underflow 0
		.amdhsa_exception_fp_ieee_inexact 0
		.amdhsa_exception_int_div_zero 0
	.end_amdhsa_kernel
	.section	.text._Z6kernelI14inclusive_scanILN6hipcub18BlockScanAlgorithmE0EEdLj256ELj1ELj100EEvPKT0_PS4_S4_,"axG",@progbits,_Z6kernelI14inclusive_scanILN6hipcub18BlockScanAlgorithmE0EEdLj256ELj1ELj100EEvPKT0_PS4_S4_,comdat
.Lfunc_end90:
	.size	_Z6kernelI14inclusive_scanILN6hipcub18BlockScanAlgorithmE0EEdLj256ELj1ELj100EEvPKT0_PS4_S4_, .Lfunc_end90-_Z6kernelI14inclusive_scanILN6hipcub18BlockScanAlgorithmE0EEdLj256ELj1ELj100EEvPKT0_PS4_S4_
                                        ; -- End function
	.section	.AMDGPU.csdata,"",@progbits
; Kernel info:
; codeLenInByte = 716
; NumSgprs: 33
; NumVgprs: 12
; NumAgprs: 0
; TotalNumVgprs: 12
; ScratchSize: 0
; MemoryBound: 0
; FloatMode: 240
; IeeeMode: 1
; LDSByteSize: 32 bytes/workgroup (compile time only)
; SGPRBlocks: 4
; VGPRBlocks: 1
; NumSGPRsForWavesPerEU: 33
; NumVGPRsForWavesPerEU: 12
; AccumOffset: 12
; Occupancy: 8
; WaveLimiterHint : 0
; COMPUTE_PGM_RSRC2:SCRATCH_EN: 0
; COMPUTE_PGM_RSRC2:USER_SGPR: 2
; COMPUTE_PGM_RSRC2:TRAP_HANDLER: 0
; COMPUTE_PGM_RSRC2:TGID_X_EN: 1
; COMPUTE_PGM_RSRC2:TGID_Y_EN: 0
; COMPUTE_PGM_RSRC2:TGID_Z_EN: 0
; COMPUTE_PGM_RSRC2:TIDIG_COMP_CNT: 0
; COMPUTE_PGM_RSRC3_GFX90A:ACCUM_OFFSET: 2
; COMPUTE_PGM_RSRC3_GFX90A:TG_SPLIT: 0
	.section	.text._Z6kernelI14inclusive_scanILN6hipcub18BlockScanAlgorithmE0EEdLj256ELj3ELj100EEvPKT0_PS4_S4_,"axG",@progbits,_Z6kernelI14inclusive_scanILN6hipcub18BlockScanAlgorithmE0EEdLj256ELj3ELj100EEvPKT0_PS4_S4_,comdat
	.protected	_Z6kernelI14inclusive_scanILN6hipcub18BlockScanAlgorithmE0EEdLj256ELj3ELj100EEvPKT0_PS4_S4_ ; -- Begin function _Z6kernelI14inclusive_scanILN6hipcub18BlockScanAlgorithmE0EEdLj256ELj3ELj100EEvPKT0_PS4_S4_
	.globl	_Z6kernelI14inclusive_scanILN6hipcub18BlockScanAlgorithmE0EEdLj256ELj3ELj100EEvPKT0_PS4_S4_
	.p2align	8
	.type	_Z6kernelI14inclusive_scanILN6hipcub18BlockScanAlgorithmE0EEdLj256ELj3ELj100EEvPKT0_PS4_S4_,@function
_Z6kernelI14inclusive_scanILN6hipcub18BlockScanAlgorithmE0EEdLj256ELj3ELj100EEvPKT0_PS4_S4_: ; @_Z6kernelI14inclusive_scanILN6hipcub18BlockScanAlgorithmE0EEdLj256ELj3ELj100EEvPKT0_PS4_S4_
; %bb.0:
	s_load_dword s3, s[0:1], 0x24
	s_load_dwordx4 s[24:27], s[0:1], 0x0
	v_mov_b32_e32 v3, 0
	v_mov_b32_e32 v5, v3
	;; [unrolled: 1-line block ×3, first 2 shown]
	s_waitcnt lgkmcnt(0)
	s_and_b32 s0, s3, 0xffff
	s_mul_i32 s2, s2, s0
	v_add_u32_e32 v1, s2, v0
	v_lshl_add_u32 v2, v1, 1, v1
	v_lshl_add_u64 v[14:15], v[2:3], 3, s[24:25]
	v_add_u32_e32 v4, 1, v2
	v_add_u32_e32 v6, 2, v2
	v_lshl_add_u64 v[16:17], v[4:5], 3, s[24:25]
	v_lshl_add_u64 v[18:19], v[6:7], 3, s[24:25]
	global_load_dwordx2 v[12:13], v[14:15], off
	global_load_dwordx2 v[10:11], v[16:17], off
	;; [unrolled: 1-line block ×3, first 2 shown]
	v_mbcnt_lo_u32_b32 v1, -1, 0
	v_mbcnt_hi_u32_b32 v1, -1, v1
	v_and_b32_e32 v14, 15, v1
	v_cmp_eq_u32_e32 vcc, 0, v14
	v_cmp_lt_u32_e64 s[0:1], 1, v14
	v_cmp_lt_u32_e64 s[2:3], 3, v14
	;; [unrolled: 1-line block ×3, first 2 shown]
	v_and_b32_e32 v14, 16, v1
	v_cmp_eq_u32_e64 s[6:7], 0, v14
	v_or_b32_e32 v14, 63, v0
	v_cmp_eq_u32_e64 s[10:11], v14, v0
	v_add_u32_e32 v14, -1, v1
	v_and_b32_e32 v15, 64, v1
	v_cmp_lt_i32_e64 s[16:17], v14, v15
	v_cmp_gt_u32_e64 s[12:13], 4, v0
	v_cmp_lt_u32_e64 s[14:15], 63, v0
	v_cndmask_b32_e64 v14, v14, v1, s[16:17]
	v_lshlrev_b32_e32 v16, 2, v14
	v_lshrrev_b32_e32 v14, 3, v0
	v_cmp_eq_u32_e64 s[16:17], 0, v0
	v_and_b32_e32 v17, 24, v14
	v_lshlrev_b32_e32 v18, 3, v0
	v_and_b32_e32 v0, 3, v1
	v_cmp_eq_u32_e64 s[8:9], 0, v1
	v_cmp_lt_u32_e64 s[18:19], 31, v1
	v_cmp_eq_u32_e64 s[20:21], 0, v0
	v_cmp_lt_u32_e64 s[22:23], 1, v0
	v_add_u32_e32 v19, -8, v17
	s_movk_i32 s28, 0x64
	s_branch .LBB91_2
.LBB91_1:                               ;   in Loop: Header=BB91_2 Depth=1
	s_or_b64 exec, exec, s[24:25]
	ds_bpermute_b32 v1, v16, v1
	ds_bpermute_b32 v0, v16, v0
	s_add_i32 s28, s28, -1
	s_cmp_lg_u32 s28, 0
	s_waitcnt lgkmcnt(1)
	v_cndmask_b32_e64 v1, v1, v15, s[8:9]
	s_waitcnt lgkmcnt(0)
	v_cndmask_b32_e64 v0, v0, v14, s[8:9]
	v_add_f64 v[0:1], v[12:13], v[0:1]
	v_cndmask_b32_e64 v13, v1, v13, s[16:17]
	v_cndmask_b32_e64 v12, v0, v12, s[16:17]
	v_add_f64 v[10:11], v[10:11], v[12:13]
	v_add_f64 v[8:9], v[8:9], v[10:11]
	s_cbranch_scc0 .LBB91_8
.LBB91_2:                               ; =>This Inner Loop Header: Depth=1
	s_waitcnt vmcnt(1)
	v_add_f64 v[0:1], v[12:13], v[10:11]
	s_waitcnt vmcnt(0)
	v_add_f64 v[0:1], v[8:9], v[0:1]
	s_nop 1
	v_mov_b32_dpp v14, v0 row_shr:1 row_mask:0xf bank_mask:0xf
	v_mov_b32_dpp v15, v1 row_shr:1 row_mask:0xf bank_mask:0xf
	v_add_f64 v[14:15], v[0:1], v[14:15]
	v_cndmask_b32_e32 v14, v14, v0, vcc
	v_cndmask_b32_e32 v15, v15, v1, vcc
	s_nop 0
	v_mov_b32_dpp v20, v14 row_shr:2 row_mask:0xf bank_mask:0xf
	v_mov_b32_dpp v21, v15 row_shr:2 row_mask:0xf bank_mask:0xf
	v_add_f64 v[20:21], v[14:15], v[20:21]
	v_cndmask_b32_e64 v14, v14, v20, s[0:1]
	v_cndmask_b32_e64 v15, v15, v21, s[0:1]
	s_nop 0
	v_mov_b32_dpp v20, v14 row_shr:4 row_mask:0xf bank_mask:0xf
	v_mov_b32_dpp v21, v15 row_shr:4 row_mask:0xf bank_mask:0xf
	v_add_f64 v[20:21], v[14:15], v[20:21]
	v_cndmask_b32_e64 v14, v14, v20, s[2:3]
	v_cndmask_b32_e64 v15, v15, v21, s[2:3]
	;; [unrolled: 6-line block ×3, first 2 shown]
	s_nop 0
	v_mov_b32_dpp v20, v14 row_bcast:15 row_mask:0xf bank_mask:0xf
	v_mov_b32_dpp v21, v15 row_bcast:15 row_mask:0xf bank_mask:0xf
	v_add_f64 v[20:21], v[14:15], v[20:21]
	v_cndmask_b32_e64 v14, v20, v14, s[6:7]
	v_cndmask_b32_e64 v15, v21, v15, s[6:7]
	s_nop 0
	v_mov_b32_dpp v20, v14 row_bcast:31 row_mask:0xf bank_mask:0xf
	v_mov_b32_dpp v21, v15 row_bcast:31 row_mask:0xf bank_mask:0xf
	v_add_f64 v[20:21], v[14:15], v[20:21]
	v_cndmask_b32_e64 v14, v14, v20, s[18:19]
	v_cndmask_b32_e64 v15, v15, v21, s[18:19]
	;; [unrolled: 1-line block ×4, first 2 shown]
	s_and_saveexec_b64 s[24:25], s[10:11]
	s_cbranch_execz .LBB91_4
; %bb.3:                                ;   in Loop: Header=BB91_2 Depth=1
	ds_write_b64 v17, v[0:1]
.LBB91_4:                               ;   in Loop: Header=BB91_2 Depth=1
	s_or_b64 exec, exec, s[24:25]
	s_waitcnt lgkmcnt(0)
	s_barrier
	s_and_saveexec_b64 s[24:25], s[12:13]
	s_cbranch_execz .LBB91_6
; %bb.5:                                ;   in Loop: Header=BB91_2 Depth=1
	ds_read_b64 v[14:15], v18
	s_waitcnt lgkmcnt(0)
	s_nop 0
	v_mov_b32_dpp v20, v14 row_shr:1 row_mask:0xf bank_mask:0xf
	v_mov_b32_dpp v21, v15 row_shr:1 row_mask:0xf bank_mask:0xf
	v_add_f64 v[20:21], v[14:15], v[20:21]
	v_cndmask_b32_e64 v15, v21, v15, s[20:21]
	v_cndmask_b32_e64 v14, v20, v14, s[20:21]
	s_nop 0
	v_mov_b32_dpp v21, v15 row_shr:2 row_mask:0xf bank_mask:0xf
	v_mov_b32_dpp v20, v14 row_shr:2 row_mask:0xf bank_mask:0xf
	v_add_f64 v[20:21], v[14:15], v[20:21]
	v_cndmask_b32_e64 v15, v15, v21, s[22:23]
	v_cndmask_b32_e64 v14, v14, v20, s[22:23]
	ds_write_b64 v18, v[14:15]
.LBB91_6:                               ;   in Loop: Header=BB91_2 Depth=1
	s_or_b64 exec, exec, s[24:25]
	s_waitcnt lgkmcnt(0)
	s_barrier
	s_waitcnt lgkmcnt(0)
                                        ; implicit-def: $vgpr14_vgpr15
	s_and_saveexec_b64 s[24:25], s[14:15]
	s_cbranch_execz .LBB91_1
; %bb.7:                                ;   in Loop: Header=BB91_2 Depth=1
	ds_read_b64 v[14:15], v19
	s_waitcnt lgkmcnt(0)
	v_add_f64 v[0:1], v[0:1], v[14:15]
	s_branch .LBB91_1
.LBB91_8:
	v_lshl_add_u64 v[0:1], v[2:3], 3, s[26:27]
	global_store_dwordx2 v[0:1], v[12:13], off
	v_lshl_add_u64 v[0:1], v[4:5], 3, s[26:27]
	global_store_dwordx2 v[0:1], v[10:11], off
	;; [unrolled: 2-line block ×3, first 2 shown]
	s_endpgm
	.section	.rodata,"a",@progbits
	.p2align	6, 0x0
	.amdhsa_kernel _Z6kernelI14inclusive_scanILN6hipcub18BlockScanAlgorithmE0EEdLj256ELj3ELj100EEvPKT0_PS4_S4_
		.amdhsa_group_segment_fixed_size 32
		.amdhsa_private_segment_fixed_size 0
		.amdhsa_kernarg_size 280
		.amdhsa_user_sgpr_count 2
		.amdhsa_user_sgpr_dispatch_ptr 0
		.amdhsa_user_sgpr_queue_ptr 0
		.amdhsa_user_sgpr_kernarg_segment_ptr 1
		.amdhsa_user_sgpr_dispatch_id 0
		.amdhsa_user_sgpr_kernarg_preload_length 0
		.amdhsa_user_sgpr_kernarg_preload_offset 0
		.amdhsa_user_sgpr_private_segment_size 0
		.amdhsa_uses_dynamic_stack 0
		.amdhsa_enable_private_segment 0
		.amdhsa_system_sgpr_workgroup_id_x 1
		.amdhsa_system_sgpr_workgroup_id_y 0
		.amdhsa_system_sgpr_workgroup_id_z 0
		.amdhsa_system_sgpr_workgroup_info 0
		.amdhsa_system_vgpr_workitem_id 0
		.amdhsa_next_free_vgpr 22
		.amdhsa_next_free_sgpr 29
		.amdhsa_accum_offset 24
		.amdhsa_reserve_vcc 1
		.amdhsa_float_round_mode_32 0
		.amdhsa_float_round_mode_16_64 0
		.amdhsa_float_denorm_mode_32 3
		.amdhsa_float_denorm_mode_16_64 3
		.amdhsa_dx10_clamp 1
		.amdhsa_ieee_mode 1
		.amdhsa_fp16_overflow 0
		.amdhsa_tg_split 0
		.amdhsa_exception_fp_ieee_invalid_op 0
		.amdhsa_exception_fp_denorm_src 0
		.amdhsa_exception_fp_ieee_div_zero 0
		.amdhsa_exception_fp_ieee_overflow 0
		.amdhsa_exception_fp_ieee_underflow 0
		.amdhsa_exception_fp_ieee_inexact 0
		.amdhsa_exception_int_div_zero 0
	.end_amdhsa_kernel
	.section	.text._Z6kernelI14inclusive_scanILN6hipcub18BlockScanAlgorithmE0EEdLj256ELj3ELj100EEvPKT0_PS4_S4_,"axG",@progbits,_Z6kernelI14inclusive_scanILN6hipcub18BlockScanAlgorithmE0EEdLj256ELj3ELj100EEvPKT0_PS4_S4_,comdat
.Lfunc_end91:
	.size	_Z6kernelI14inclusive_scanILN6hipcub18BlockScanAlgorithmE0EEdLj256ELj3ELj100EEvPKT0_PS4_S4_, .Lfunc_end91-_Z6kernelI14inclusive_scanILN6hipcub18BlockScanAlgorithmE0EEdLj256ELj3ELj100EEvPKT0_PS4_S4_
                                        ; -- End function
	.section	.AMDGPU.csdata,"",@progbits
; Kernel info:
; codeLenInByte = 932
; NumSgprs: 35
; NumVgprs: 22
; NumAgprs: 0
; TotalNumVgprs: 22
; ScratchSize: 0
; MemoryBound: 0
; FloatMode: 240
; IeeeMode: 1
; LDSByteSize: 32 bytes/workgroup (compile time only)
; SGPRBlocks: 4
; VGPRBlocks: 2
; NumSGPRsForWavesPerEU: 35
; NumVGPRsForWavesPerEU: 22
; AccumOffset: 24
; Occupancy: 8
; WaveLimiterHint : 0
; COMPUTE_PGM_RSRC2:SCRATCH_EN: 0
; COMPUTE_PGM_RSRC2:USER_SGPR: 2
; COMPUTE_PGM_RSRC2:TRAP_HANDLER: 0
; COMPUTE_PGM_RSRC2:TGID_X_EN: 1
; COMPUTE_PGM_RSRC2:TGID_Y_EN: 0
; COMPUTE_PGM_RSRC2:TGID_Z_EN: 0
; COMPUTE_PGM_RSRC2:TIDIG_COMP_CNT: 0
; COMPUTE_PGM_RSRC3_GFX90A:ACCUM_OFFSET: 5
; COMPUTE_PGM_RSRC3_GFX90A:TG_SPLIT: 0
	.section	.text._Z6kernelI14inclusive_scanILN6hipcub18BlockScanAlgorithmE0EEdLj256ELj4ELj100EEvPKT0_PS4_S4_,"axG",@progbits,_Z6kernelI14inclusive_scanILN6hipcub18BlockScanAlgorithmE0EEdLj256ELj4ELj100EEvPKT0_PS4_S4_,comdat
	.protected	_Z6kernelI14inclusive_scanILN6hipcub18BlockScanAlgorithmE0EEdLj256ELj4ELj100EEvPKT0_PS4_S4_ ; -- Begin function _Z6kernelI14inclusive_scanILN6hipcub18BlockScanAlgorithmE0EEdLj256ELj4ELj100EEvPKT0_PS4_S4_
	.globl	_Z6kernelI14inclusive_scanILN6hipcub18BlockScanAlgorithmE0EEdLj256ELj4ELj100EEvPKT0_PS4_S4_
	.p2align	8
	.type	_Z6kernelI14inclusive_scanILN6hipcub18BlockScanAlgorithmE0EEdLj256ELj4ELj100EEvPKT0_PS4_S4_,@function
_Z6kernelI14inclusive_scanILN6hipcub18BlockScanAlgorithmE0EEdLj256ELj4ELj100EEvPKT0_PS4_S4_: ; @_Z6kernelI14inclusive_scanILN6hipcub18BlockScanAlgorithmE0EEdLj256ELj4ELj100EEvPKT0_PS4_S4_
; %bb.0:
	s_load_dwordx4 s[24:27], s[0:1], 0x0
	s_load_dword s3, s[0:1], 0x24
	v_mov_b32_e32 v11, 0
	v_mbcnt_lo_u32_b32 v1, -1, 0
	v_mbcnt_hi_u32_b32 v1, -1, v1
	s_waitcnt lgkmcnt(0)
	v_mov_b32_e32 v2, s24
	s_and_b32 s0, s3, 0xffff
	s_mul_i32 s2, s2, s0
	v_mov_b32_e32 v3, s25
	v_add_lshl_u32 v10, s2, v0, 2
	v_lshl_add_u64 v[12:13], v[10:11], 3, v[2:3]
	global_load_dwordx4 v[2:5], v[12:13], off offset:16
	global_load_dwordx4 v[6:9], v[12:13], off
	v_and_b32_e32 v12, 15, v1
	v_cmp_eq_u32_e32 vcc, 0, v12
	v_cmp_lt_u32_e64 s[0:1], 1, v12
	v_cmp_lt_u32_e64 s[2:3], 3, v12
	;; [unrolled: 1-line block ×3, first 2 shown]
	v_and_b32_e32 v12, 16, v1
	v_cmp_eq_u32_e64 s[6:7], 0, v12
	v_or_b32_e32 v12, 63, v0
	v_cmp_eq_u32_e64 s[10:11], v12, v0
	v_add_u32_e32 v12, -1, v1
	v_and_b32_e32 v13, 64, v1
	v_cmp_lt_i32_e64 s[16:17], v12, v13
	v_cmp_gt_u32_e64 s[12:13], 4, v0
	v_cmp_lt_u32_e64 s[14:15], 63, v0
	v_cndmask_b32_e64 v12, v12, v1, s[16:17]
	v_lshlrev_b32_e32 v14, 2, v12
	v_lshrrev_b32_e32 v12, 3, v0
	v_cmp_eq_u32_e64 s[16:17], 0, v0
	v_and_b32_e32 v15, 24, v12
	v_lshlrev_b32_e32 v16, 3, v0
	v_and_b32_e32 v0, 3, v1
	v_cmp_eq_u32_e64 s[8:9], 0, v1
	v_cmp_lt_u32_e64 s[18:19], 31, v1
	v_cmp_eq_u32_e64 s[20:21], 0, v0
	v_cmp_lt_u32_e64 s[22:23], 1, v0
	v_add_u32_e32 v17, -8, v15
	s_movk_i32 s28, 0x64
	s_branch .LBB92_2
.LBB92_1:                               ;   in Loop: Header=BB92_2 Depth=1
	s_or_b64 exec, exec, s[24:25]
	ds_bpermute_b32 v1, v14, v1
	ds_bpermute_b32 v0, v14, v0
	s_add_i32 s28, s28, -1
	s_cmp_lg_u32 s28, 0
	s_waitcnt lgkmcnt(1)
	v_cndmask_b32_e64 v1, v1, v13, s[8:9]
	s_waitcnt lgkmcnt(0)
	v_cndmask_b32_e64 v0, v0, v12, s[8:9]
	v_add_f64 v[0:1], v[6:7], v[0:1]
	v_cndmask_b32_e64 v7, v1, v7, s[16:17]
	v_cndmask_b32_e64 v6, v0, v6, s[16:17]
	v_add_f64 v[8:9], v[8:9], v[6:7]
	v_add_f64 v[2:3], v[2:3], v[8:9]
	;; [unrolled: 1-line block ×3, first 2 shown]
	s_cbranch_scc0 .LBB92_8
.LBB92_2:                               ; =>This Inner Loop Header: Depth=1
	s_waitcnt vmcnt(0)
	v_add_f64 v[0:1], v[6:7], v[8:9]
	v_add_f64 v[0:1], v[2:3], v[0:1]
	;; [unrolled: 1-line block ×3, first 2 shown]
	s_nop 1
	v_mov_b32_dpp v12, v0 row_shr:1 row_mask:0xf bank_mask:0xf
	v_mov_b32_dpp v13, v1 row_shr:1 row_mask:0xf bank_mask:0xf
	v_add_f64 v[12:13], v[0:1], v[12:13]
	v_cndmask_b32_e32 v12, v12, v0, vcc
	v_cndmask_b32_e32 v13, v13, v1, vcc
	s_nop 0
	v_mov_b32_dpp v18, v12 row_shr:2 row_mask:0xf bank_mask:0xf
	v_mov_b32_dpp v19, v13 row_shr:2 row_mask:0xf bank_mask:0xf
	v_add_f64 v[18:19], v[12:13], v[18:19]
	v_cndmask_b32_e64 v12, v12, v18, s[0:1]
	v_cndmask_b32_e64 v13, v13, v19, s[0:1]
	s_nop 0
	v_mov_b32_dpp v18, v12 row_shr:4 row_mask:0xf bank_mask:0xf
	v_mov_b32_dpp v19, v13 row_shr:4 row_mask:0xf bank_mask:0xf
	v_add_f64 v[18:19], v[12:13], v[18:19]
	v_cndmask_b32_e64 v12, v12, v18, s[2:3]
	v_cndmask_b32_e64 v13, v13, v19, s[2:3]
	;; [unrolled: 6-line block ×3, first 2 shown]
	s_nop 0
	v_mov_b32_dpp v18, v12 row_bcast:15 row_mask:0xf bank_mask:0xf
	v_mov_b32_dpp v19, v13 row_bcast:15 row_mask:0xf bank_mask:0xf
	v_add_f64 v[18:19], v[12:13], v[18:19]
	v_cndmask_b32_e64 v12, v18, v12, s[6:7]
	v_cndmask_b32_e64 v13, v19, v13, s[6:7]
	s_nop 0
	v_mov_b32_dpp v18, v12 row_bcast:31 row_mask:0xf bank_mask:0xf
	v_mov_b32_dpp v19, v13 row_bcast:31 row_mask:0xf bank_mask:0xf
	v_add_f64 v[18:19], v[12:13], v[18:19]
	v_cndmask_b32_e64 v12, v12, v18, s[18:19]
	v_cndmask_b32_e64 v13, v13, v19, s[18:19]
	;; [unrolled: 1-line block ×4, first 2 shown]
	s_and_saveexec_b64 s[24:25], s[10:11]
	s_cbranch_execz .LBB92_4
; %bb.3:                                ;   in Loop: Header=BB92_2 Depth=1
	ds_write_b64 v15, v[0:1]
.LBB92_4:                               ;   in Loop: Header=BB92_2 Depth=1
	s_or_b64 exec, exec, s[24:25]
	s_waitcnt lgkmcnt(0)
	s_barrier
	s_and_saveexec_b64 s[24:25], s[12:13]
	s_cbranch_execz .LBB92_6
; %bb.5:                                ;   in Loop: Header=BB92_2 Depth=1
	ds_read_b64 v[12:13], v16
	s_waitcnt lgkmcnt(0)
	s_nop 0
	v_mov_b32_dpp v18, v12 row_shr:1 row_mask:0xf bank_mask:0xf
	v_mov_b32_dpp v19, v13 row_shr:1 row_mask:0xf bank_mask:0xf
	v_add_f64 v[18:19], v[12:13], v[18:19]
	v_cndmask_b32_e64 v13, v19, v13, s[20:21]
	v_cndmask_b32_e64 v12, v18, v12, s[20:21]
	s_nop 0
	v_mov_b32_dpp v19, v13 row_shr:2 row_mask:0xf bank_mask:0xf
	v_mov_b32_dpp v18, v12 row_shr:2 row_mask:0xf bank_mask:0xf
	v_add_f64 v[18:19], v[12:13], v[18:19]
	v_cndmask_b32_e64 v13, v13, v19, s[22:23]
	v_cndmask_b32_e64 v12, v12, v18, s[22:23]
	ds_write_b64 v16, v[12:13]
.LBB92_6:                               ;   in Loop: Header=BB92_2 Depth=1
	s_or_b64 exec, exec, s[24:25]
	s_waitcnt lgkmcnt(0)
	s_barrier
	s_waitcnt lgkmcnt(0)
                                        ; implicit-def: $vgpr12_vgpr13
	s_and_saveexec_b64 s[24:25], s[14:15]
	s_cbranch_execz .LBB92_1
; %bb.7:                                ;   in Loop: Header=BB92_2 Depth=1
	ds_read_b64 v[12:13], v17
	s_waitcnt lgkmcnt(0)
	v_add_f64 v[0:1], v[0:1], v[12:13]
	s_branch .LBB92_1
.LBB92_8:
	v_mov_b32_e32 v0, s26
	v_mov_b32_e32 v1, s27
	v_lshl_add_u64 v[0:1], v[10:11], 3, v[0:1]
	global_store_dwordx4 v[0:1], v[6:9], off
	global_store_dwordx4 v[0:1], v[2:5], off offset:16
	s_endpgm
	.section	.rodata,"a",@progbits
	.p2align	6, 0x0
	.amdhsa_kernel _Z6kernelI14inclusive_scanILN6hipcub18BlockScanAlgorithmE0EEdLj256ELj4ELj100EEvPKT0_PS4_S4_
		.amdhsa_group_segment_fixed_size 32
		.amdhsa_private_segment_fixed_size 0
		.amdhsa_kernarg_size 280
		.amdhsa_user_sgpr_count 2
		.amdhsa_user_sgpr_dispatch_ptr 0
		.amdhsa_user_sgpr_queue_ptr 0
		.amdhsa_user_sgpr_kernarg_segment_ptr 1
		.amdhsa_user_sgpr_dispatch_id 0
		.amdhsa_user_sgpr_kernarg_preload_length 0
		.amdhsa_user_sgpr_kernarg_preload_offset 0
		.amdhsa_user_sgpr_private_segment_size 0
		.amdhsa_uses_dynamic_stack 0
		.amdhsa_enable_private_segment 0
		.amdhsa_system_sgpr_workgroup_id_x 1
		.amdhsa_system_sgpr_workgroup_id_y 0
		.amdhsa_system_sgpr_workgroup_id_z 0
		.amdhsa_system_sgpr_workgroup_info 0
		.amdhsa_system_vgpr_workitem_id 0
		.amdhsa_next_free_vgpr 20
		.amdhsa_next_free_sgpr 29
		.amdhsa_accum_offset 20
		.amdhsa_reserve_vcc 1
		.amdhsa_float_round_mode_32 0
		.amdhsa_float_round_mode_16_64 0
		.amdhsa_float_denorm_mode_32 3
		.amdhsa_float_denorm_mode_16_64 3
		.amdhsa_dx10_clamp 1
		.amdhsa_ieee_mode 1
		.amdhsa_fp16_overflow 0
		.amdhsa_tg_split 0
		.amdhsa_exception_fp_ieee_invalid_op 0
		.amdhsa_exception_fp_denorm_src 0
		.amdhsa_exception_fp_ieee_div_zero 0
		.amdhsa_exception_fp_ieee_overflow 0
		.amdhsa_exception_fp_ieee_underflow 0
		.amdhsa_exception_fp_ieee_inexact 0
		.amdhsa_exception_int_div_zero 0
	.end_amdhsa_kernel
	.section	.text._Z6kernelI14inclusive_scanILN6hipcub18BlockScanAlgorithmE0EEdLj256ELj4ELj100EEvPKT0_PS4_S4_,"axG",@progbits,_Z6kernelI14inclusive_scanILN6hipcub18BlockScanAlgorithmE0EEdLj256ELj4ELj100EEvPKT0_PS4_S4_,comdat
.Lfunc_end92:
	.size	_Z6kernelI14inclusive_scanILN6hipcub18BlockScanAlgorithmE0EEdLj256ELj4ELj100EEvPKT0_PS4_S4_, .Lfunc_end92-_Z6kernelI14inclusive_scanILN6hipcub18BlockScanAlgorithmE0EEdLj256ELj4ELj100EEvPKT0_PS4_S4_
                                        ; -- End function
	.section	.AMDGPU.csdata,"",@progbits
; Kernel info:
; codeLenInByte = 892
; NumSgprs: 35
; NumVgprs: 20
; NumAgprs: 0
; TotalNumVgprs: 20
; ScratchSize: 0
; MemoryBound: 0
; FloatMode: 240
; IeeeMode: 1
; LDSByteSize: 32 bytes/workgroup (compile time only)
; SGPRBlocks: 4
; VGPRBlocks: 2
; NumSGPRsForWavesPerEU: 35
; NumVGPRsForWavesPerEU: 20
; AccumOffset: 20
; Occupancy: 8
; WaveLimiterHint : 0
; COMPUTE_PGM_RSRC2:SCRATCH_EN: 0
; COMPUTE_PGM_RSRC2:USER_SGPR: 2
; COMPUTE_PGM_RSRC2:TRAP_HANDLER: 0
; COMPUTE_PGM_RSRC2:TGID_X_EN: 1
; COMPUTE_PGM_RSRC2:TGID_Y_EN: 0
; COMPUTE_PGM_RSRC2:TGID_Z_EN: 0
; COMPUTE_PGM_RSRC2:TIDIG_COMP_CNT: 0
; COMPUTE_PGM_RSRC3_GFX90A:ACCUM_OFFSET: 4
; COMPUTE_PGM_RSRC3_GFX90A:TG_SPLIT: 0
	.section	.text._Z6kernelI14inclusive_scanILN6hipcub18BlockScanAlgorithmE0EEdLj256ELj8ELj100EEvPKT0_PS4_S4_,"axG",@progbits,_Z6kernelI14inclusive_scanILN6hipcub18BlockScanAlgorithmE0EEdLj256ELj8ELj100EEvPKT0_PS4_S4_,comdat
	.protected	_Z6kernelI14inclusive_scanILN6hipcub18BlockScanAlgorithmE0EEdLj256ELj8ELj100EEvPKT0_PS4_S4_ ; -- Begin function _Z6kernelI14inclusive_scanILN6hipcub18BlockScanAlgorithmE0EEdLj256ELj8ELj100EEvPKT0_PS4_S4_
	.globl	_Z6kernelI14inclusive_scanILN6hipcub18BlockScanAlgorithmE0EEdLj256ELj8ELj100EEvPKT0_PS4_S4_
	.p2align	8
	.type	_Z6kernelI14inclusive_scanILN6hipcub18BlockScanAlgorithmE0EEdLj256ELj8ELj100EEvPKT0_PS4_S4_,@function
_Z6kernelI14inclusive_scanILN6hipcub18BlockScanAlgorithmE0EEdLj256ELj8ELj100EEvPKT0_PS4_S4_: ; @_Z6kernelI14inclusive_scanILN6hipcub18BlockScanAlgorithmE0EEdLj256ELj8ELj100EEvPKT0_PS4_S4_
; %bb.0:
	s_load_dwordx4 s[24:27], s[0:1], 0x0
	s_load_dword s3, s[0:1], 0x24
	v_mov_b32_e32 v19, 0
	v_mbcnt_lo_u32_b32 v1, -1, 0
	v_mbcnt_hi_u32_b32 v1, -1, v1
	s_waitcnt lgkmcnt(0)
	v_mov_b32_e32 v2, s24
	s_and_b32 s0, s3, 0xffff
	s_mul_i32 s2, s2, s0
	v_mov_b32_e32 v3, s25
	v_add_lshl_u32 v18, s2, v0, 3
	v_lshl_add_u64 v[20:21], v[18:19], 3, v[2:3]
	global_load_dwordx4 v[2:5], v[20:21], off offset:48
	global_load_dwordx4 v[6:9], v[20:21], off offset:32
	;; [unrolled: 1-line block ×3, first 2 shown]
	global_load_dwordx4 v[14:17], v[20:21], off
	v_and_b32_e32 v20, 15, v1
	v_cmp_eq_u32_e32 vcc, 0, v20
	v_cmp_lt_u32_e64 s[0:1], 1, v20
	v_cmp_lt_u32_e64 s[2:3], 3, v20
	;; [unrolled: 1-line block ×3, first 2 shown]
	v_and_b32_e32 v20, 16, v1
	v_cmp_eq_u32_e64 s[6:7], 0, v20
	v_or_b32_e32 v20, 63, v0
	v_cmp_eq_u32_e64 s[10:11], v20, v0
	v_add_u32_e32 v20, -1, v1
	v_and_b32_e32 v21, 64, v1
	v_cmp_lt_i32_e64 s[16:17], v20, v21
	v_cmp_gt_u32_e64 s[12:13], 4, v0
	v_cmp_lt_u32_e64 s[14:15], 63, v0
	v_cndmask_b32_e64 v20, v20, v1, s[16:17]
	v_lshlrev_b32_e32 v22, 2, v20
	v_lshrrev_b32_e32 v20, 3, v0
	v_cmp_eq_u32_e64 s[16:17], 0, v0
	v_and_b32_e32 v23, 24, v20
	v_lshlrev_b32_e32 v24, 3, v0
	v_and_b32_e32 v0, 3, v1
	v_cmp_eq_u32_e64 s[8:9], 0, v1
	v_cmp_lt_u32_e64 s[18:19], 31, v1
	v_cmp_eq_u32_e64 s[20:21], 0, v0
	v_cmp_lt_u32_e64 s[22:23], 1, v0
	v_add_u32_e32 v25, -8, v23
	s_movk_i32 s28, 0x64
	s_branch .LBB93_2
.LBB93_1:                               ;   in Loop: Header=BB93_2 Depth=1
	s_or_b64 exec, exec, s[24:25]
	ds_bpermute_b32 v1, v22, v1
	ds_bpermute_b32 v0, v22, v0
	s_add_i32 s28, s28, -1
	s_cmp_lg_u32 s28, 0
	s_waitcnt lgkmcnt(1)
	v_cndmask_b32_e64 v1, v1, v21, s[8:9]
	s_waitcnt lgkmcnt(0)
	v_cndmask_b32_e64 v0, v0, v20, s[8:9]
	v_add_f64 v[0:1], v[14:15], v[0:1]
	v_cndmask_b32_e64 v15, v1, v15, s[16:17]
	v_cndmask_b32_e64 v14, v0, v14, s[16:17]
	v_add_f64 v[16:17], v[16:17], v[14:15]
	v_add_f64 v[10:11], v[10:11], v[16:17]
	;; [unrolled: 1-line block ×7, first 2 shown]
	s_cbranch_scc0 .LBB93_8
.LBB93_2:                               ; =>This Inner Loop Header: Depth=1
	s_waitcnt vmcnt(0)
	v_add_f64 v[0:1], v[16:17], v[14:15]
	v_add_f64 v[0:1], v[10:11], v[0:1]
	;; [unrolled: 1-line block ×7, first 2 shown]
	s_nop 1
	v_mov_b32_dpp v20, v0 row_shr:1 row_mask:0xf bank_mask:0xf
	v_mov_b32_dpp v21, v1 row_shr:1 row_mask:0xf bank_mask:0xf
	v_add_f64 v[20:21], v[0:1], v[20:21]
	v_cndmask_b32_e32 v20, v20, v0, vcc
	v_cndmask_b32_e32 v21, v21, v1, vcc
	s_nop 0
	v_mov_b32_dpp v26, v20 row_shr:2 row_mask:0xf bank_mask:0xf
	v_mov_b32_dpp v27, v21 row_shr:2 row_mask:0xf bank_mask:0xf
	v_add_f64 v[26:27], v[20:21], v[26:27]
	v_cndmask_b32_e64 v20, v20, v26, s[0:1]
	v_cndmask_b32_e64 v21, v21, v27, s[0:1]
	s_nop 0
	v_mov_b32_dpp v26, v20 row_shr:4 row_mask:0xf bank_mask:0xf
	v_mov_b32_dpp v27, v21 row_shr:4 row_mask:0xf bank_mask:0xf
	v_add_f64 v[26:27], v[20:21], v[26:27]
	v_cndmask_b32_e64 v20, v20, v26, s[2:3]
	v_cndmask_b32_e64 v21, v21, v27, s[2:3]
	;; [unrolled: 6-line block ×3, first 2 shown]
	s_nop 0
	v_mov_b32_dpp v26, v20 row_bcast:15 row_mask:0xf bank_mask:0xf
	v_mov_b32_dpp v27, v21 row_bcast:15 row_mask:0xf bank_mask:0xf
	v_add_f64 v[26:27], v[20:21], v[26:27]
	v_cndmask_b32_e64 v20, v26, v20, s[6:7]
	v_cndmask_b32_e64 v21, v27, v21, s[6:7]
	s_nop 0
	v_mov_b32_dpp v26, v20 row_bcast:31 row_mask:0xf bank_mask:0xf
	v_mov_b32_dpp v27, v21 row_bcast:31 row_mask:0xf bank_mask:0xf
	v_add_f64 v[26:27], v[20:21], v[26:27]
	v_cndmask_b32_e64 v20, v20, v26, s[18:19]
	v_cndmask_b32_e64 v21, v21, v27, s[18:19]
	;; [unrolled: 1-line block ×4, first 2 shown]
	s_and_saveexec_b64 s[24:25], s[10:11]
	s_cbranch_execz .LBB93_4
; %bb.3:                                ;   in Loop: Header=BB93_2 Depth=1
	ds_write_b64 v23, v[0:1]
.LBB93_4:                               ;   in Loop: Header=BB93_2 Depth=1
	s_or_b64 exec, exec, s[24:25]
	s_waitcnt lgkmcnt(0)
	s_barrier
	s_and_saveexec_b64 s[24:25], s[12:13]
	s_cbranch_execz .LBB93_6
; %bb.5:                                ;   in Loop: Header=BB93_2 Depth=1
	ds_read_b64 v[20:21], v24
	s_waitcnt lgkmcnt(0)
	s_nop 0
	v_mov_b32_dpp v26, v20 row_shr:1 row_mask:0xf bank_mask:0xf
	v_mov_b32_dpp v27, v21 row_shr:1 row_mask:0xf bank_mask:0xf
	v_add_f64 v[26:27], v[20:21], v[26:27]
	v_cndmask_b32_e64 v21, v27, v21, s[20:21]
	v_cndmask_b32_e64 v20, v26, v20, s[20:21]
	s_nop 0
	v_mov_b32_dpp v27, v21 row_shr:2 row_mask:0xf bank_mask:0xf
	v_mov_b32_dpp v26, v20 row_shr:2 row_mask:0xf bank_mask:0xf
	v_add_f64 v[26:27], v[20:21], v[26:27]
	v_cndmask_b32_e64 v21, v21, v27, s[22:23]
	v_cndmask_b32_e64 v20, v20, v26, s[22:23]
	ds_write_b64 v24, v[20:21]
.LBB93_6:                               ;   in Loop: Header=BB93_2 Depth=1
	s_or_b64 exec, exec, s[24:25]
	s_waitcnt lgkmcnt(0)
	s_barrier
	s_waitcnt lgkmcnt(0)
                                        ; implicit-def: $vgpr20_vgpr21
	s_and_saveexec_b64 s[24:25], s[14:15]
	s_cbranch_execz .LBB93_1
; %bb.7:                                ;   in Loop: Header=BB93_2 Depth=1
	ds_read_b64 v[20:21], v25
	s_waitcnt lgkmcnt(0)
	v_add_f64 v[0:1], v[0:1], v[20:21]
	s_branch .LBB93_1
.LBB93_8:
	v_mov_b32_e32 v0, s26
	v_mov_b32_e32 v1, s27
	v_lshl_add_u64 v[0:1], v[18:19], 3, v[0:1]
	global_store_dwordx4 v[0:1], v[14:17], off
	global_store_dwordx4 v[0:1], v[10:13], off offset:16
	global_store_dwordx4 v[0:1], v[6:9], off offset:32
	;; [unrolled: 1-line block ×3, first 2 shown]
	s_endpgm
	.section	.rodata,"a",@progbits
	.p2align	6, 0x0
	.amdhsa_kernel _Z6kernelI14inclusive_scanILN6hipcub18BlockScanAlgorithmE0EEdLj256ELj8ELj100EEvPKT0_PS4_S4_
		.amdhsa_group_segment_fixed_size 32
		.amdhsa_private_segment_fixed_size 0
		.amdhsa_kernarg_size 280
		.amdhsa_user_sgpr_count 2
		.amdhsa_user_sgpr_dispatch_ptr 0
		.amdhsa_user_sgpr_queue_ptr 0
		.amdhsa_user_sgpr_kernarg_segment_ptr 1
		.amdhsa_user_sgpr_dispatch_id 0
		.amdhsa_user_sgpr_kernarg_preload_length 0
		.amdhsa_user_sgpr_kernarg_preload_offset 0
		.amdhsa_user_sgpr_private_segment_size 0
		.amdhsa_uses_dynamic_stack 0
		.amdhsa_enable_private_segment 0
		.amdhsa_system_sgpr_workgroup_id_x 1
		.amdhsa_system_sgpr_workgroup_id_y 0
		.amdhsa_system_sgpr_workgroup_id_z 0
		.amdhsa_system_sgpr_workgroup_info 0
		.amdhsa_system_vgpr_workitem_id 0
		.amdhsa_next_free_vgpr 28
		.amdhsa_next_free_sgpr 29
		.amdhsa_accum_offset 28
		.amdhsa_reserve_vcc 1
		.amdhsa_float_round_mode_32 0
		.amdhsa_float_round_mode_16_64 0
		.amdhsa_float_denorm_mode_32 3
		.amdhsa_float_denorm_mode_16_64 3
		.amdhsa_dx10_clamp 1
		.amdhsa_ieee_mode 1
		.amdhsa_fp16_overflow 0
		.amdhsa_tg_split 0
		.amdhsa_exception_fp_ieee_invalid_op 0
		.amdhsa_exception_fp_denorm_src 0
		.amdhsa_exception_fp_ieee_div_zero 0
		.amdhsa_exception_fp_ieee_overflow 0
		.amdhsa_exception_fp_ieee_underflow 0
		.amdhsa_exception_fp_ieee_inexact 0
		.amdhsa_exception_int_div_zero 0
	.end_amdhsa_kernel
	.section	.text._Z6kernelI14inclusive_scanILN6hipcub18BlockScanAlgorithmE0EEdLj256ELj8ELj100EEvPKT0_PS4_S4_,"axG",@progbits,_Z6kernelI14inclusive_scanILN6hipcub18BlockScanAlgorithmE0EEdLj256ELj8ELj100EEvPKT0_PS4_S4_,comdat
.Lfunc_end93:
	.size	_Z6kernelI14inclusive_scanILN6hipcub18BlockScanAlgorithmE0EEdLj256ELj8ELj100EEvPKT0_PS4_S4_, .Lfunc_end93-_Z6kernelI14inclusive_scanILN6hipcub18BlockScanAlgorithmE0EEdLj256ELj8ELj100EEvPKT0_PS4_S4_
                                        ; -- End function
	.section	.AMDGPU.csdata,"",@progbits
; Kernel info:
; codeLenInByte = 988
; NumSgprs: 35
; NumVgprs: 28
; NumAgprs: 0
; TotalNumVgprs: 28
; ScratchSize: 0
; MemoryBound: 0
; FloatMode: 240
; IeeeMode: 1
; LDSByteSize: 32 bytes/workgroup (compile time only)
; SGPRBlocks: 4
; VGPRBlocks: 3
; NumSGPRsForWavesPerEU: 35
; NumVGPRsForWavesPerEU: 28
; AccumOffset: 28
; Occupancy: 8
; WaveLimiterHint : 0
; COMPUTE_PGM_RSRC2:SCRATCH_EN: 0
; COMPUTE_PGM_RSRC2:USER_SGPR: 2
; COMPUTE_PGM_RSRC2:TRAP_HANDLER: 0
; COMPUTE_PGM_RSRC2:TGID_X_EN: 1
; COMPUTE_PGM_RSRC2:TGID_Y_EN: 0
; COMPUTE_PGM_RSRC2:TGID_Z_EN: 0
; COMPUTE_PGM_RSRC2:TIDIG_COMP_CNT: 0
; COMPUTE_PGM_RSRC3_GFX90A:ACCUM_OFFSET: 6
; COMPUTE_PGM_RSRC3_GFX90A:TG_SPLIT: 0
	.section	.text._Z6kernelI14inclusive_scanILN6hipcub18BlockScanAlgorithmE0EEdLj256ELj11ELj100EEvPKT0_PS4_S4_,"axG",@progbits,_Z6kernelI14inclusive_scanILN6hipcub18BlockScanAlgorithmE0EEdLj256ELj11ELj100EEvPKT0_PS4_S4_,comdat
	.protected	_Z6kernelI14inclusive_scanILN6hipcub18BlockScanAlgorithmE0EEdLj256ELj11ELj100EEvPKT0_PS4_S4_ ; -- Begin function _Z6kernelI14inclusive_scanILN6hipcub18BlockScanAlgorithmE0EEdLj256ELj11ELj100EEvPKT0_PS4_S4_
	.globl	_Z6kernelI14inclusive_scanILN6hipcub18BlockScanAlgorithmE0EEdLj256ELj11ELj100EEvPKT0_PS4_S4_
	.p2align	8
	.type	_Z6kernelI14inclusive_scanILN6hipcub18BlockScanAlgorithmE0EEdLj256ELj11ELj100EEvPKT0_PS4_S4_,@function
_Z6kernelI14inclusive_scanILN6hipcub18BlockScanAlgorithmE0EEdLj256ELj11ELj100EEvPKT0_PS4_S4_: ; @_Z6kernelI14inclusive_scanILN6hipcub18BlockScanAlgorithmE0EEdLj256ELj11ELj100EEvPKT0_PS4_S4_
; %bb.0:
	s_load_dword s3, s[0:1], 0x24
	s_load_dwordx4 s[24:27], s[0:1], 0x0
	v_mov_b32_e32 v3, 0
	v_mov_b32_e32 v5, v3
	;; [unrolled: 1-line block ×3, first 2 shown]
	s_waitcnt lgkmcnt(0)
	s_and_b32 s0, s3, 0xffff
	s_mul_i32 s2, s2, s0
	v_add_u32_e32 v1, s2, v0
	v_mul_lo_u32 v2, v1, 11
	v_lshl_add_u64 v[18:19], v[2:3], 3, s[24:25]
	v_add_u32_e32 v4, 1, v2
	v_add_u32_e32 v6, 2, v2
	;; [unrolled: 1-line block ×3, first 2 shown]
	v_mov_b32_e32 v9, v3
	v_lshl_add_u64 v[20:21], v[4:5], 3, s[24:25]
	v_lshl_add_u64 v[22:23], v[6:7], 3, s[24:25]
	;; [unrolled: 1-line block ×3, first 2 shown]
	global_load_dwordx2 v[16:17], v[18:19], off
	global_load_dwordx2 v[14:15], v[20:21], off
	;; [unrolled: 1-line block ×4, first 2 shown]
	v_add_u32_e32 v18, 4, v2
	v_mov_b32_e32 v19, v3
	v_lshl_add_u64 v[34:35], v[18:19], 3, s[24:25]
	v_add_u32_e32 v20, 5, v2
	v_mov_b32_e32 v21, v3
	v_add_u32_e32 v22, 6, v2
	v_mov_b32_e32 v23, v3
	;; [unrolled: 2-line block ×3, first 2 shown]
	v_lshl_add_u64 v[36:37], v[20:21], 3, s[24:25]
	v_lshl_add_u64 v[38:39], v[22:23], 3, s[24:25]
	;; [unrolled: 1-line block ×3, first 2 shown]
	global_load_dwordx2 v[32:33], v[34:35], off
	global_load_dwordx2 v[30:31], v[36:37], off
	;; [unrolled: 1-line block ×4, first 2 shown]
	v_add_u32_e32 v34, 8, v2
	v_mov_b32_e32 v35, v3
	v_lshl_add_u64 v[46:47], v[34:35], 3, s[24:25]
	v_add_u32_e32 v36, 9, v2
	v_mov_b32_e32 v37, v3
	v_add_u32_e32 v38, 10, v2
	v_mov_b32_e32 v39, v3
	v_lshl_add_u64 v[48:49], v[36:37], 3, s[24:25]
	v_lshl_add_u64 v[50:51], v[38:39], 3, s[24:25]
	global_load_dwordx2 v[44:45], v[46:47], off
	global_load_dwordx2 v[42:43], v[48:49], off
	;; [unrolled: 1-line block ×3, first 2 shown]
	v_mbcnt_lo_u32_b32 v1, -1, 0
	v_mbcnt_hi_u32_b32 v1, -1, v1
	v_and_b32_e32 v46, 15, v1
	v_cmp_eq_u32_e32 vcc, 0, v46
	v_cmp_lt_u32_e64 s[0:1], 1, v46
	v_cmp_lt_u32_e64 s[2:3], 3, v46
	;; [unrolled: 1-line block ×3, first 2 shown]
	v_and_b32_e32 v46, 16, v1
	v_cmp_eq_u32_e64 s[6:7], 0, v46
	v_or_b32_e32 v46, 63, v0
	v_cmp_eq_u32_e64 s[10:11], v46, v0
	v_add_u32_e32 v46, -1, v1
	v_and_b32_e32 v47, 64, v1
	v_cmp_lt_i32_e64 s[16:17], v46, v47
	v_cmp_gt_u32_e64 s[12:13], 4, v0
	v_cmp_lt_u32_e64 s[14:15], 63, v0
	v_cndmask_b32_e64 v46, v46, v1, s[16:17]
	v_lshlrev_b32_e32 v48, 2, v46
	v_lshrrev_b32_e32 v46, 3, v0
	v_cmp_eq_u32_e64 s[16:17], 0, v0
	v_and_b32_e32 v49, 24, v46
	v_lshlrev_b32_e32 v50, 3, v0
	v_and_b32_e32 v0, 3, v1
	v_cmp_eq_u32_e64 s[8:9], 0, v1
	v_cmp_lt_u32_e64 s[18:19], 31, v1
	v_cmp_eq_u32_e64 s[20:21], 0, v0
	v_cmp_lt_u32_e64 s[22:23], 1, v0
	v_add_u32_e32 v51, -8, v49
	s_movk_i32 s28, 0x64
	s_branch .LBB94_2
.LBB94_1:                               ;   in Loop: Header=BB94_2 Depth=1
	s_or_b64 exec, exec, s[24:25]
	ds_bpermute_b32 v1, v48, v1
	ds_bpermute_b32 v0, v48, v0
	s_add_i32 s28, s28, -1
	s_cmp_lg_u32 s28, 0
	s_waitcnt lgkmcnt(1)
	v_cndmask_b32_e64 v1, v1, v47, s[8:9]
	s_waitcnt lgkmcnt(0)
	v_cndmask_b32_e64 v0, v0, v46, s[8:9]
	v_add_f64 v[0:1], v[16:17], v[0:1]
	v_cndmask_b32_e64 v17, v1, v17, s[16:17]
	v_cndmask_b32_e64 v16, v0, v16, s[16:17]
	v_add_f64 v[14:15], v[14:15], v[16:17]
	v_add_f64 v[12:13], v[12:13], v[14:15]
	;; [unrolled: 1-line block ×10, first 2 shown]
	s_cbranch_scc0 .LBB94_8
.LBB94_2:                               ; =>This Inner Loop Header: Depth=1
	s_waitcnt vmcnt(9)
	v_add_f64 v[0:1], v[14:15], v[16:17]
	s_waitcnt vmcnt(8)
	v_add_f64 v[0:1], v[12:13], v[0:1]
	;; [unrolled: 2-line block ×10, first 2 shown]
	s_nop 1
	v_mov_b32_dpp v46, v0 row_shr:1 row_mask:0xf bank_mask:0xf
	v_mov_b32_dpp v47, v1 row_shr:1 row_mask:0xf bank_mask:0xf
	v_add_f64 v[46:47], v[0:1], v[46:47]
	v_cndmask_b32_e32 v46, v46, v0, vcc
	v_cndmask_b32_e32 v47, v47, v1, vcc
	s_nop 0
	v_mov_b32_dpp v52, v46 row_shr:2 row_mask:0xf bank_mask:0xf
	v_mov_b32_dpp v53, v47 row_shr:2 row_mask:0xf bank_mask:0xf
	v_add_f64 v[52:53], v[46:47], v[52:53]
	v_cndmask_b32_e64 v46, v46, v52, s[0:1]
	v_cndmask_b32_e64 v47, v47, v53, s[0:1]
	s_nop 0
	v_mov_b32_dpp v52, v46 row_shr:4 row_mask:0xf bank_mask:0xf
	v_mov_b32_dpp v53, v47 row_shr:4 row_mask:0xf bank_mask:0xf
	v_add_f64 v[52:53], v[46:47], v[52:53]
	v_cndmask_b32_e64 v46, v46, v52, s[2:3]
	v_cndmask_b32_e64 v47, v47, v53, s[2:3]
	;; [unrolled: 6-line block ×3, first 2 shown]
	s_nop 0
	v_mov_b32_dpp v52, v46 row_bcast:15 row_mask:0xf bank_mask:0xf
	v_mov_b32_dpp v53, v47 row_bcast:15 row_mask:0xf bank_mask:0xf
	v_add_f64 v[52:53], v[46:47], v[52:53]
	v_cndmask_b32_e64 v46, v52, v46, s[6:7]
	v_cndmask_b32_e64 v47, v53, v47, s[6:7]
	s_nop 0
	v_mov_b32_dpp v52, v46 row_bcast:31 row_mask:0xf bank_mask:0xf
	v_mov_b32_dpp v53, v47 row_bcast:31 row_mask:0xf bank_mask:0xf
	v_add_f64 v[52:53], v[46:47], v[52:53]
	v_cndmask_b32_e64 v46, v46, v52, s[18:19]
	v_cndmask_b32_e64 v47, v47, v53, s[18:19]
	v_cndmask_b32_e64 v1, v47, v1, s[8:9]
	v_cndmask_b32_e64 v0, v46, v0, s[8:9]
	s_and_saveexec_b64 s[24:25], s[10:11]
	s_cbranch_execz .LBB94_4
; %bb.3:                                ;   in Loop: Header=BB94_2 Depth=1
	ds_write_b64 v49, v[0:1]
.LBB94_4:                               ;   in Loop: Header=BB94_2 Depth=1
	s_or_b64 exec, exec, s[24:25]
	s_waitcnt lgkmcnt(0)
	s_barrier
	s_and_saveexec_b64 s[24:25], s[12:13]
	s_cbranch_execz .LBB94_6
; %bb.5:                                ;   in Loop: Header=BB94_2 Depth=1
	ds_read_b64 v[46:47], v50
	s_waitcnt lgkmcnt(0)
	s_nop 0
	v_mov_b32_dpp v52, v46 row_shr:1 row_mask:0xf bank_mask:0xf
	v_mov_b32_dpp v53, v47 row_shr:1 row_mask:0xf bank_mask:0xf
	v_add_f64 v[52:53], v[46:47], v[52:53]
	v_cndmask_b32_e64 v47, v53, v47, s[20:21]
	v_cndmask_b32_e64 v46, v52, v46, s[20:21]
	s_nop 0
	v_mov_b32_dpp v53, v47 row_shr:2 row_mask:0xf bank_mask:0xf
	v_mov_b32_dpp v52, v46 row_shr:2 row_mask:0xf bank_mask:0xf
	v_add_f64 v[52:53], v[46:47], v[52:53]
	v_cndmask_b32_e64 v47, v47, v53, s[22:23]
	v_cndmask_b32_e64 v46, v46, v52, s[22:23]
	ds_write_b64 v50, v[46:47]
.LBB94_6:                               ;   in Loop: Header=BB94_2 Depth=1
	s_or_b64 exec, exec, s[24:25]
	s_waitcnt lgkmcnt(0)
	s_barrier
	s_waitcnt lgkmcnt(0)
                                        ; implicit-def: $vgpr46_vgpr47
	s_and_saveexec_b64 s[24:25], s[14:15]
	s_cbranch_execz .LBB94_1
; %bb.7:                                ;   in Loop: Header=BB94_2 Depth=1
	ds_read_b64 v[46:47], v51
	s_waitcnt lgkmcnt(0)
	v_add_f64 v[0:1], v[0:1], v[46:47]
	s_branch .LBB94_1
.LBB94_8:
	v_lshl_add_u64 v[0:1], v[2:3], 3, s[26:27]
	global_store_dwordx2 v[0:1], v[16:17], off
	v_lshl_add_u64 v[0:1], v[4:5], 3, s[26:27]
	global_store_dwordx2 v[0:1], v[14:15], off
	;; [unrolled: 2-line block ×11, first 2 shown]
	s_endpgm
	.section	.rodata,"a",@progbits
	.p2align	6, 0x0
	.amdhsa_kernel _Z6kernelI14inclusive_scanILN6hipcub18BlockScanAlgorithmE0EEdLj256ELj11ELj100EEvPKT0_PS4_S4_
		.amdhsa_group_segment_fixed_size 32
		.amdhsa_private_segment_fixed_size 0
		.amdhsa_kernarg_size 280
		.amdhsa_user_sgpr_count 2
		.amdhsa_user_sgpr_dispatch_ptr 0
		.amdhsa_user_sgpr_queue_ptr 0
		.amdhsa_user_sgpr_kernarg_segment_ptr 1
		.amdhsa_user_sgpr_dispatch_id 0
		.amdhsa_user_sgpr_kernarg_preload_length 0
		.amdhsa_user_sgpr_kernarg_preload_offset 0
		.amdhsa_user_sgpr_private_segment_size 0
		.amdhsa_uses_dynamic_stack 0
		.amdhsa_enable_private_segment 0
		.amdhsa_system_sgpr_workgroup_id_x 1
		.amdhsa_system_sgpr_workgroup_id_y 0
		.amdhsa_system_sgpr_workgroup_id_z 0
		.amdhsa_system_sgpr_workgroup_info 0
		.amdhsa_system_vgpr_workitem_id 0
		.amdhsa_next_free_vgpr 54
		.amdhsa_next_free_sgpr 29
		.amdhsa_accum_offset 56
		.amdhsa_reserve_vcc 1
		.amdhsa_float_round_mode_32 0
		.amdhsa_float_round_mode_16_64 0
		.amdhsa_float_denorm_mode_32 3
		.amdhsa_float_denorm_mode_16_64 3
		.amdhsa_dx10_clamp 1
		.amdhsa_ieee_mode 1
		.amdhsa_fp16_overflow 0
		.amdhsa_tg_split 0
		.amdhsa_exception_fp_ieee_invalid_op 0
		.amdhsa_exception_fp_denorm_src 0
		.amdhsa_exception_fp_ieee_div_zero 0
		.amdhsa_exception_fp_ieee_overflow 0
		.amdhsa_exception_fp_ieee_underflow 0
		.amdhsa_exception_fp_ieee_inexact 0
		.amdhsa_exception_int_div_zero 0
	.end_amdhsa_kernel
	.section	.text._Z6kernelI14inclusive_scanILN6hipcub18BlockScanAlgorithmE0EEdLj256ELj11ELj100EEvPKT0_PS4_S4_,"axG",@progbits,_Z6kernelI14inclusive_scanILN6hipcub18BlockScanAlgorithmE0EEdLj256ELj11ELj100EEvPKT0_PS4_S4_,comdat
.Lfunc_end94:
	.size	_Z6kernelI14inclusive_scanILN6hipcub18BlockScanAlgorithmE0EEdLj256ELj11ELj100EEvPKT0_PS4_S4_, .Lfunc_end94-_Z6kernelI14inclusive_scanILN6hipcub18BlockScanAlgorithmE0EEdLj256ELj11ELj100EEvPKT0_PS4_S4_
                                        ; -- End function
	.section	.AMDGPU.csdata,"",@progbits
; Kernel info:
; codeLenInByte = 1412
; NumSgprs: 35
; NumVgprs: 54
; NumAgprs: 0
; TotalNumVgprs: 54
; ScratchSize: 0
; MemoryBound: 0
; FloatMode: 240
; IeeeMode: 1
; LDSByteSize: 32 bytes/workgroup (compile time only)
; SGPRBlocks: 4
; VGPRBlocks: 6
; NumSGPRsForWavesPerEU: 35
; NumVGPRsForWavesPerEU: 54
; AccumOffset: 56
; Occupancy: 8
; WaveLimiterHint : 0
; COMPUTE_PGM_RSRC2:SCRATCH_EN: 0
; COMPUTE_PGM_RSRC2:USER_SGPR: 2
; COMPUTE_PGM_RSRC2:TRAP_HANDLER: 0
; COMPUTE_PGM_RSRC2:TGID_X_EN: 1
; COMPUTE_PGM_RSRC2:TGID_Y_EN: 0
; COMPUTE_PGM_RSRC2:TGID_Z_EN: 0
; COMPUTE_PGM_RSRC2:TIDIG_COMP_CNT: 0
; COMPUTE_PGM_RSRC3_GFX90A:ACCUM_OFFSET: 13
; COMPUTE_PGM_RSRC3_GFX90A:TG_SPLIT: 0
	.section	.text._Z6kernelI14inclusive_scanILN6hipcub18BlockScanAlgorithmE0EEdLj256ELj16ELj100EEvPKT0_PS4_S4_,"axG",@progbits,_Z6kernelI14inclusive_scanILN6hipcub18BlockScanAlgorithmE0EEdLj256ELj16ELj100EEvPKT0_PS4_S4_,comdat
	.protected	_Z6kernelI14inclusive_scanILN6hipcub18BlockScanAlgorithmE0EEdLj256ELj16ELj100EEvPKT0_PS4_S4_ ; -- Begin function _Z6kernelI14inclusive_scanILN6hipcub18BlockScanAlgorithmE0EEdLj256ELj16ELj100EEvPKT0_PS4_S4_
	.globl	_Z6kernelI14inclusive_scanILN6hipcub18BlockScanAlgorithmE0EEdLj256ELj16ELj100EEvPKT0_PS4_S4_
	.p2align	8
	.type	_Z6kernelI14inclusive_scanILN6hipcub18BlockScanAlgorithmE0EEdLj256ELj16ELj100EEvPKT0_PS4_S4_,@function
_Z6kernelI14inclusive_scanILN6hipcub18BlockScanAlgorithmE0EEdLj256ELj16ELj100EEvPKT0_PS4_S4_: ; @_Z6kernelI14inclusive_scanILN6hipcub18BlockScanAlgorithmE0EEdLj256ELj16ELj100EEvPKT0_PS4_S4_
; %bb.0:
	s_load_dwordx4 s[24:27], s[0:1], 0x0
	s_load_dword s3, s[0:1], 0x24
	v_mov_b32_e32 v35, 0
	v_mbcnt_lo_u32_b32 v1, -1, 0
	v_mbcnt_hi_u32_b32 v1, -1, v1
	s_waitcnt lgkmcnt(0)
	v_mov_b32_e32 v2, s24
	s_and_b32 s0, s3, 0xffff
	s_mul_i32 s2, s2, s0
	v_mov_b32_e32 v3, s25
	v_add_lshl_u32 v34, s2, v0, 4
	v_lshl_add_u64 v[36:37], v[34:35], 3, v[2:3]
	global_load_dwordx4 v[2:5], v[36:37], off offset:48
	global_load_dwordx4 v[10:13], v[36:37], off offset:32
	;; [unrolled: 1-line block ×3, first 2 shown]
	global_load_dwordx4 v[26:29], v[36:37], off
	global_load_dwordx4 v[6:9], v[36:37], off offset:112
	global_load_dwordx4 v[14:17], v[36:37], off offset:96
	;; [unrolled: 1-line block ×4, first 2 shown]
	v_and_b32_e32 v36, 15, v1
	v_cmp_eq_u32_e32 vcc, 0, v36
	v_cmp_lt_u32_e64 s[0:1], 1, v36
	v_cmp_lt_u32_e64 s[2:3], 3, v36
	;; [unrolled: 1-line block ×3, first 2 shown]
	v_and_b32_e32 v36, 16, v1
	v_cmp_eq_u32_e64 s[6:7], 0, v36
	v_or_b32_e32 v36, 63, v0
	v_cmp_eq_u32_e64 s[10:11], v36, v0
	v_add_u32_e32 v36, -1, v1
	v_and_b32_e32 v37, 64, v1
	v_cmp_lt_i32_e64 s[16:17], v36, v37
	v_cmp_gt_u32_e64 s[12:13], 4, v0
	v_cmp_lt_u32_e64 s[14:15], 63, v0
	v_cndmask_b32_e64 v36, v36, v1, s[16:17]
	v_lshlrev_b32_e32 v38, 2, v36
	v_lshrrev_b32_e32 v36, 3, v0
	v_cmp_eq_u32_e64 s[16:17], 0, v0
	v_and_b32_e32 v39, 24, v36
	v_lshlrev_b32_e32 v40, 3, v0
	v_and_b32_e32 v0, 3, v1
	v_cmp_eq_u32_e64 s[8:9], 0, v1
	v_cmp_lt_u32_e64 s[18:19], 31, v1
	v_cmp_eq_u32_e64 s[20:21], 0, v0
	v_cmp_lt_u32_e64 s[22:23], 1, v0
	v_add_u32_e32 v41, -8, v39
	s_movk_i32 s28, 0x64
	s_branch .LBB95_2
.LBB95_1:                               ;   in Loop: Header=BB95_2 Depth=1
	s_or_b64 exec, exec, s[24:25]
	ds_bpermute_b32 v1, v38, v1
	ds_bpermute_b32 v0, v38, v0
	s_add_i32 s28, s28, -1
	s_cmp_lg_u32 s28, 0
	s_waitcnt lgkmcnt(1)
	v_cndmask_b32_e64 v1, v1, v37, s[8:9]
	s_waitcnt lgkmcnt(0)
	v_cndmask_b32_e64 v0, v0, v36, s[8:9]
	v_add_f64 v[0:1], v[26:27], v[0:1]
	v_cndmask_b32_e64 v27, v1, v27, s[16:17]
	v_cndmask_b32_e64 v26, v0, v26, s[16:17]
	v_add_f64 v[28:29], v[28:29], v[26:27]
	v_add_f64 v[18:19], v[18:19], v[28:29]
	v_add_f64 v[20:21], v[20:21], v[18:19]
	v_add_f64 v[10:11], v[10:11], v[20:21]
	v_add_f64 v[12:13], v[12:13], v[10:11]
	v_add_f64 v[2:3], v[2:3], v[12:13]
	v_add_f64 v[4:5], v[4:5], v[2:3]
	v_add_f64 v[30:31], v[30:31], v[4:5]
	v_add_f64 v[32:33], v[32:33], v[30:31]
	v_add_f64 v[22:23], v[22:23], v[32:33]
	v_add_f64 v[24:25], v[24:25], v[22:23]
	v_add_f64 v[14:15], v[14:15], v[24:25]
	v_add_f64 v[16:17], v[16:17], v[14:15]
	v_add_f64 v[6:7], v[6:7], v[16:17]
	v_add_f64 v[8:9], v[8:9], v[6:7]
	s_cbranch_scc0 .LBB95_8
.LBB95_2:                               ; =>This Inner Loop Header: Depth=1
	s_waitcnt vmcnt(4)
	v_add_f64 v[0:1], v[28:29], v[26:27]
	v_add_f64 v[0:1], v[18:19], v[0:1]
	;; [unrolled: 1-line block ×7, first 2 shown]
	s_waitcnt vmcnt(0)
	v_add_f64 v[0:1], v[30:31], v[0:1]
	v_add_f64 v[0:1], v[32:33], v[0:1]
	;; [unrolled: 1-line block ×8, first 2 shown]
	s_nop 1
	v_mov_b32_dpp v36, v0 row_shr:1 row_mask:0xf bank_mask:0xf
	v_mov_b32_dpp v37, v1 row_shr:1 row_mask:0xf bank_mask:0xf
	v_add_f64 v[36:37], v[0:1], v[36:37]
	v_cndmask_b32_e32 v36, v36, v0, vcc
	v_cndmask_b32_e32 v37, v37, v1, vcc
	s_nop 0
	v_mov_b32_dpp v42, v36 row_shr:2 row_mask:0xf bank_mask:0xf
	v_mov_b32_dpp v43, v37 row_shr:2 row_mask:0xf bank_mask:0xf
	v_add_f64 v[42:43], v[36:37], v[42:43]
	v_cndmask_b32_e64 v36, v36, v42, s[0:1]
	v_cndmask_b32_e64 v37, v37, v43, s[0:1]
	s_nop 0
	v_mov_b32_dpp v42, v36 row_shr:4 row_mask:0xf bank_mask:0xf
	v_mov_b32_dpp v43, v37 row_shr:4 row_mask:0xf bank_mask:0xf
	v_add_f64 v[42:43], v[36:37], v[42:43]
	v_cndmask_b32_e64 v36, v36, v42, s[2:3]
	v_cndmask_b32_e64 v37, v37, v43, s[2:3]
	;; [unrolled: 6-line block ×3, first 2 shown]
	s_nop 0
	v_mov_b32_dpp v42, v36 row_bcast:15 row_mask:0xf bank_mask:0xf
	v_mov_b32_dpp v43, v37 row_bcast:15 row_mask:0xf bank_mask:0xf
	v_add_f64 v[42:43], v[36:37], v[42:43]
	v_cndmask_b32_e64 v36, v42, v36, s[6:7]
	v_cndmask_b32_e64 v37, v43, v37, s[6:7]
	s_nop 0
	v_mov_b32_dpp v42, v36 row_bcast:31 row_mask:0xf bank_mask:0xf
	v_mov_b32_dpp v43, v37 row_bcast:31 row_mask:0xf bank_mask:0xf
	v_add_f64 v[42:43], v[36:37], v[42:43]
	v_cndmask_b32_e64 v36, v36, v42, s[18:19]
	v_cndmask_b32_e64 v37, v37, v43, s[18:19]
	;; [unrolled: 1-line block ×4, first 2 shown]
	s_and_saveexec_b64 s[24:25], s[10:11]
	s_cbranch_execz .LBB95_4
; %bb.3:                                ;   in Loop: Header=BB95_2 Depth=1
	ds_write_b64 v39, v[0:1]
.LBB95_4:                               ;   in Loop: Header=BB95_2 Depth=1
	s_or_b64 exec, exec, s[24:25]
	s_waitcnt lgkmcnt(0)
	s_barrier
	s_and_saveexec_b64 s[24:25], s[12:13]
	s_cbranch_execz .LBB95_6
; %bb.5:                                ;   in Loop: Header=BB95_2 Depth=1
	ds_read_b64 v[36:37], v40
	s_waitcnt lgkmcnt(0)
	s_nop 0
	v_mov_b32_dpp v42, v36 row_shr:1 row_mask:0xf bank_mask:0xf
	v_mov_b32_dpp v43, v37 row_shr:1 row_mask:0xf bank_mask:0xf
	v_add_f64 v[42:43], v[36:37], v[42:43]
	v_cndmask_b32_e64 v37, v43, v37, s[20:21]
	v_cndmask_b32_e64 v36, v42, v36, s[20:21]
	s_nop 0
	v_mov_b32_dpp v43, v37 row_shr:2 row_mask:0xf bank_mask:0xf
	v_mov_b32_dpp v42, v36 row_shr:2 row_mask:0xf bank_mask:0xf
	v_add_f64 v[42:43], v[36:37], v[42:43]
	v_cndmask_b32_e64 v37, v37, v43, s[22:23]
	v_cndmask_b32_e64 v36, v36, v42, s[22:23]
	ds_write_b64 v40, v[36:37]
.LBB95_6:                               ;   in Loop: Header=BB95_2 Depth=1
	s_or_b64 exec, exec, s[24:25]
	s_waitcnt lgkmcnt(0)
	s_barrier
	s_waitcnt lgkmcnt(0)
                                        ; implicit-def: $vgpr36_vgpr37
	s_and_saveexec_b64 s[24:25], s[14:15]
	s_cbranch_execz .LBB95_1
; %bb.7:                                ;   in Loop: Header=BB95_2 Depth=1
	ds_read_b64 v[36:37], v41
	s_waitcnt lgkmcnt(0)
	v_add_f64 v[0:1], v[0:1], v[36:37]
	s_branch .LBB95_1
.LBB95_8:
	v_mov_b32_e32 v0, s26
	v_mov_b32_e32 v1, s27
	v_lshl_add_u64 v[0:1], v[34:35], 3, v[0:1]
	global_store_dwordx4 v[0:1], v[26:29], off
	global_store_dwordx4 v[0:1], v[18:21], off offset:16
	global_store_dwordx4 v[0:1], v[10:13], off offset:32
	;; [unrolled: 1-line block ×7, first 2 shown]
	s_endpgm
	.section	.rodata,"a",@progbits
	.p2align	6, 0x0
	.amdhsa_kernel _Z6kernelI14inclusive_scanILN6hipcub18BlockScanAlgorithmE0EEdLj256ELj16ELj100EEvPKT0_PS4_S4_
		.amdhsa_group_segment_fixed_size 32
		.amdhsa_private_segment_fixed_size 0
		.amdhsa_kernarg_size 280
		.amdhsa_user_sgpr_count 2
		.amdhsa_user_sgpr_dispatch_ptr 0
		.amdhsa_user_sgpr_queue_ptr 0
		.amdhsa_user_sgpr_kernarg_segment_ptr 1
		.amdhsa_user_sgpr_dispatch_id 0
		.amdhsa_user_sgpr_kernarg_preload_length 0
		.amdhsa_user_sgpr_kernarg_preload_offset 0
		.amdhsa_user_sgpr_private_segment_size 0
		.amdhsa_uses_dynamic_stack 0
		.amdhsa_enable_private_segment 0
		.amdhsa_system_sgpr_workgroup_id_x 1
		.amdhsa_system_sgpr_workgroup_id_y 0
		.amdhsa_system_sgpr_workgroup_id_z 0
		.amdhsa_system_sgpr_workgroup_info 0
		.amdhsa_system_vgpr_workitem_id 0
		.amdhsa_next_free_vgpr 44
		.amdhsa_next_free_sgpr 29
		.amdhsa_accum_offset 44
		.amdhsa_reserve_vcc 1
		.amdhsa_float_round_mode_32 0
		.amdhsa_float_round_mode_16_64 0
		.amdhsa_float_denorm_mode_32 3
		.amdhsa_float_denorm_mode_16_64 3
		.amdhsa_dx10_clamp 1
		.amdhsa_ieee_mode 1
		.amdhsa_fp16_overflow 0
		.amdhsa_tg_split 0
		.amdhsa_exception_fp_ieee_invalid_op 0
		.amdhsa_exception_fp_denorm_src 0
		.amdhsa_exception_fp_ieee_div_zero 0
		.amdhsa_exception_fp_ieee_overflow 0
		.amdhsa_exception_fp_ieee_underflow 0
		.amdhsa_exception_fp_ieee_inexact 0
		.amdhsa_exception_int_div_zero 0
	.end_amdhsa_kernel
	.section	.text._Z6kernelI14inclusive_scanILN6hipcub18BlockScanAlgorithmE0EEdLj256ELj16ELj100EEvPKT0_PS4_S4_,"axG",@progbits,_Z6kernelI14inclusive_scanILN6hipcub18BlockScanAlgorithmE0EEdLj256ELj16ELj100EEvPKT0_PS4_S4_,comdat
.Lfunc_end95:
	.size	_Z6kernelI14inclusive_scanILN6hipcub18BlockScanAlgorithmE0EEdLj256ELj16ELj100EEvPKT0_PS4_S4_, .Lfunc_end95-_Z6kernelI14inclusive_scanILN6hipcub18BlockScanAlgorithmE0EEdLj256ELj16ELj100EEvPKT0_PS4_S4_
                                        ; -- End function
	.section	.AMDGPU.csdata,"",@progbits
; Kernel info:
; codeLenInByte = 1184
; NumSgprs: 35
; NumVgprs: 44
; NumAgprs: 0
; TotalNumVgprs: 44
; ScratchSize: 0
; MemoryBound: 0
; FloatMode: 240
; IeeeMode: 1
; LDSByteSize: 32 bytes/workgroup (compile time only)
; SGPRBlocks: 4
; VGPRBlocks: 5
; NumSGPRsForWavesPerEU: 35
; NumVGPRsForWavesPerEU: 44
; AccumOffset: 44
; Occupancy: 8
; WaveLimiterHint : 0
; COMPUTE_PGM_RSRC2:SCRATCH_EN: 0
; COMPUTE_PGM_RSRC2:USER_SGPR: 2
; COMPUTE_PGM_RSRC2:TRAP_HANDLER: 0
; COMPUTE_PGM_RSRC2:TGID_X_EN: 1
; COMPUTE_PGM_RSRC2:TGID_Y_EN: 0
; COMPUTE_PGM_RSRC2:TGID_Z_EN: 0
; COMPUTE_PGM_RSRC2:TIDIG_COMP_CNT: 0
; COMPUTE_PGM_RSRC3_GFX90A:ACCUM_OFFSET: 10
; COMPUTE_PGM_RSRC3_GFX90A:TG_SPLIT: 0
	.section	.text._Z6kernelI14inclusive_scanILN6hipcub18BlockScanAlgorithmE0EEhLj256ELj1ELj100EEvPKT0_PS4_S4_,"axG",@progbits,_Z6kernelI14inclusive_scanILN6hipcub18BlockScanAlgorithmE0EEhLj256ELj1ELj100EEvPKT0_PS4_S4_,comdat
	.protected	_Z6kernelI14inclusive_scanILN6hipcub18BlockScanAlgorithmE0EEhLj256ELj1ELj100EEvPKT0_PS4_S4_ ; -- Begin function _Z6kernelI14inclusive_scanILN6hipcub18BlockScanAlgorithmE0EEhLj256ELj1ELj100EEvPKT0_PS4_S4_
	.globl	_Z6kernelI14inclusive_scanILN6hipcub18BlockScanAlgorithmE0EEhLj256ELj1ELj100EEvPKT0_PS4_S4_
	.p2align	8
	.type	_Z6kernelI14inclusive_scanILN6hipcub18BlockScanAlgorithmE0EEhLj256ELj1ELj100EEvPKT0_PS4_S4_,@function
_Z6kernelI14inclusive_scanILN6hipcub18BlockScanAlgorithmE0EEhLj256ELj1ELj100EEvPKT0_PS4_S4_: ; @_Z6kernelI14inclusive_scanILN6hipcub18BlockScanAlgorithmE0EEhLj256ELj1ELj100EEvPKT0_PS4_S4_
; %bb.0:
	s_load_dword s3, s[0:1], 0x24
	s_load_dwordx4 s[20:23], s[0:1], 0x0
	v_mbcnt_lo_u32_b32 v1, -1, 0
	v_mbcnt_hi_u32_b32 v5, -1, v1
	v_and_b32_e32 v1, 15, v5
	s_waitcnt lgkmcnt(0)
	s_and_b32 s0, s3, 0xffff
	s_mul_i32 s2, s2, s0
	v_add_u32_e32 v2, s2, v0
	global_load_ubyte v4, v2, s[20:21]
	v_cmp_eq_u32_e32 vcc, 0, v1
	v_cmp_lt_u32_e64 s[0:1], 1, v1
	v_cmp_lt_u32_e64 s[2:3], 3, v1
	;; [unrolled: 1-line block ×3, first 2 shown]
	v_and_b32_e32 v1, 16, v5
	v_cmp_eq_u32_e64 s[6:7], 0, v1
	v_cmp_lt_u32_e64 s[8:9], 31, v5
	v_lshrrev_b32_e32 v1, 6, v0
	v_or_b32_e32 v6, 63, v0
	v_and_b32_e32 v5, 3, v5
	v_mov_b32_e32 v3, 0
	v_cmp_eq_u32_e64 s[10:11], v6, v0
	v_cmp_gt_u32_e64 s[12:13], 4, v0
	v_cmp_lt_u32_e64 s[14:15], 63, v0
	v_cmp_eq_u32_e64 s[16:17], 0, v5
	v_cmp_lt_u32_e64 s[18:19], 1, v5
	v_add_u32_e32 v5, -1, v1
	s_movk_i32 s24, 0x64
	s_branch .LBB96_2
.LBB96_1:                               ;   in Loop: Header=BB96_2 Depth=1
	s_or_b64 exec, exec, s[20:21]
	s_add_i32 s24, s24, -1
	s_cmp_lg_u32 s24, 0
	s_cbranch_scc0 .LBB96_8
.LBB96_2:                               ; =>This Inner Loop Header: Depth=1
	s_waitcnt vmcnt(0)
	v_and_b32_e32 v6, 0xff, v4
	s_nop 1
	v_mov_b32_dpp v6, v6 row_shr:1 row_mask:0xf bank_mask:0xf
	v_cndmask_b32_e64 v6, v6, 0, vcc
	v_add_u16_e32 v4, v6, v4
	v_and_b32_e32 v6, 0xff, v4
	s_nop 1
	v_mov_b32_dpp v6, v6 row_shr:2 row_mask:0xf bank_mask:0xf
	v_cndmask_b32_e64 v6, 0, v6, s[0:1]
	v_add_u16_e32 v4, v4, v6
	v_and_b32_e32 v6, 0xff, v4
	s_nop 1
	v_mov_b32_dpp v6, v6 row_shr:4 row_mask:0xf bank_mask:0xf
	v_cndmask_b32_e64 v6, 0, v6, s[2:3]
	;; [unrolled: 5-line block ×3, first 2 shown]
	v_add_u16_e32 v4, v4, v6
	v_and_b32_e32 v6, 0xff, v4
	s_nop 1
	v_mov_b32_dpp v6, v6 row_bcast:15 row_mask:0xf bank_mask:0xf
	v_cndmask_b32_e64 v6, v6, 0, s[6:7]
	v_add_u16_e32 v4, v4, v6
	v_and_b32_e32 v6, 0xff, v4
	s_nop 1
	v_mov_b32_dpp v6, v6 row_bcast:31 row_mask:0xf bank_mask:0xf
	v_cndmask_b32_e64 v6, 0, v6, s[8:9]
	v_add_u16_e32 v4, v4, v6
	s_and_saveexec_b64 s[20:21], s[10:11]
	s_cbranch_execz .LBB96_4
; %bb.3:                                ;   in Loop: Header=BB96_2 Depth=1
	ds_write_b8 v1, v4
.LBB96_4:                               ;   in Loop: Header=BB96_2 Depth=1
	s_or_b64 exec, exec, s[20:21]
	s_waitcnt lgkmcnt(0)
	s_barrier
	s_and_saveexec_b64 s[20:21], s[12:13]
	s_cbranch_execz .LBB96_6
; %bb.5:                                ;   in Loop: Header=BB96_2 Depth=1
	ds_read_u8 v6, v0
	s_waitcnt lgkmcnt(0)
	v_and_b32_e32 v7, 0xff, v6
	s_nop 1
	v_mov_b32_dpp v7, v7 row_shr:1 row_mask:0xf bank_mask:0xf
	v_cndmask_b32_e64 v7, v7, 0, s[16:17]
	v_add_u16_e32 v6, v7, v6
	v_and_b32_e32 v7, 0xff, v6
	s_nop 1
	v_mov_b32_dpp v7, v7 row_shr:2 row_mask:0xf bank_mask:0xf
	v_cndmask_b32_e64 v7, 0, v7, s[18:19]
	v_add_u16_e32 v6, v6, v7
	ds_write_b8 v0, v6
.LBB96_6:                               ;   in Loop: Header=BB96_2 Depth=1
	s_or_b64 exec, exec, s[20:21]
	s_waitcnt lgkmcnt(0)
	s_barrier
	s_and_saveexec_b64 s[20:21], s[14:15]
	s_cbranch_execz .LBB96_1
; %bb.7:                                ;   in Loop: Header=BB96_2 Depth=1
	ds_read_u8 v6, v5
	s_waitcnt lgkmcnt(0)
	v_add_u16_e32 v4, v6, v4
	s_branch .LBB96_1
.LBB96_8:
	v_lshl_add_u64 v[0:1], s[22:23], 0, v[2:3]
	global_store_byte v[0:1], v4, off
	s_endpgm
	.section	.rodata,"a",@progbits
	.p2align	6, 0x0
	.amdhsa_kernel _Z6kernelI14inclusive_scanILN6hipcub18BlockScanAlgorithmE0EEhLj256ELj1ELj100EEvPKT0_PS4_S4_
		.amdhsa_group_segment_fixed_size 4
		.amdhsa_private_segment_fixed_size 0
		.amdhsa_kernarg_size 280
		.amdhsa_user_sgpr_count 2
		.amdhsa_user_sgpr_dispatch_ptr 0
		.amdhsa_user_sgpr_queue_ptr 0
		.amdhsa_user_sgpr_kernarg_segment_ptr 1
		.amdhsa_user_sgpr_dispatch_id 0
		.amdhsa_user_sgpr_kernarg_preload_length 0
		.amdhsa_user_sgpr_kernarg_preload_offset 0
		.amdhsa_user_sgpr_private_segment_size 0
		.amdhsa_uses_dynamic_stack 0
		.amdhsa_enable_private_segment 0
		.amdhsa_system_sgpr_workgroup_id_x 1
		.amdhsa_system_sgpr_workgroup_id_y 0
		.amdhsa_system_sgpr_workgroup_id_z 0
		.amdhsa_system_sgpr_workgroup_info 0
		.amdhsa_system_vgpr_workitem_id 0
		.amdhsa_next_free_vgpr 8
		.amdhsa_next_free_sgpr 25
		.amdhsa_accum_offset 8
		.amdhsa_reserve_vcc 1
		.amdhsa_float_round_mode_32 0
		.amdhsa_float_round_mode_16_64 0
		.amdhsa_float_denorm_mode_32 3
		.amdhsa_float_denorm_mode_16_64 3
		.amdhsa_dx10_clamp 1
		.amdhsa_ieee_mode 1
		.amdhsa_fp16_overflow 0
		.amdhsa_tg_split 0
		.amdhsa_exception_fp_ieee_invalid_op 0
		.amdhsa_exception_fp_denorm_src 0
		.amdhsa_exception_fp_ieee_div_zero 0
		.amdhsa_exception_fp_ieee_overflow 0
		.amdhsa_exception_fp_ieee_underflow 0
		.amdhsa_exception_fp_ieee_inexact 0
		.amdhsa_exception_int_div_zero 0
	.end_amdhsa_kernel
	.section	.text._Z6kernelI14inclusive_scanILN6hipcub18BlockScanAlgorithmE0EEhLj256ELj1ELj100EEvPKT0_PS4_S4_,"axG",@progbits,_Z6kernelI14inclusive_scanILN6hipcub18BlockScanAlgorithmE0EEhLj256ELj1ELj100EEvPKT0_PS4_S4_,comdat
.Lfunc_end96:
	.size	_Z6kernelI14inclusive_scanILN6hipcub18BlockScanAlgorithmE0EEhLj256ELj1ELj100EEvPKT0_PS4_S4_, .Lfunc_end96-_Z6kernelI14inclusive_scanILN6hipcub18BlockScanAlgorithmE0EEhLj256ELj1ELj100EEvPKT0_PS4_S4_
                                        ; -- End function
	.section	.AMDGPU.csdata,"",@progbits
; Kernel info:
; codeLenInByte = 572
; NumSgprs: 31
; NumVgprs: 8
; NumAgprs: 0
; TotalNumVgprs: 8
; ScratchSize: 0
; MemoryBound: 0
; FloatMode: 240
; IeeeMode: 1
; LDSByteSize: 4 bytes/workgroup (compile time only)
; SGPRBlocks: 3
; VGPRBlocks: 0
; NumSGPRsForWavesPerEU: 31
; NumVGPRsForWavesPerEU: 8
; AccumOffset: 8
; Occupancy: 8
; WaveLimiterHint : 0
; COMPUTE_PGM_RSRC2:SCRATCH_EN: 0
; COMPUTE_PGM_RSRC2:USER_SGPR: 2
; COMPUTE_PGM_RSRC2:TRAP_HANDLER: 0
; COMPUTE_PGM_RSRC2:TGID_X_EN: 1
; COMPUTE_PGM_RSRC2:TGID_Y_EN: 0
; COMPUTE_PGM_RSRC2:TGID_Z_EN: 0
; COMPUTE_PGM_RSRC2:TIDIG_COMP_CNT: 0
; COMPUTE_PGM_RSRC3_GFX90A:ACCUM_OFFSET: 1
; COMPUTE_PGM_RSRC3_GFX90A:TG_SPLIT: 0
	.section	.text._Z6kernelI14inclusive_scanILN6hipcub18BlockScanAlgorithmE0EEhLj256ELj3ELj100EEvPKT0_PS4_S4_,"axG",@progbits,_Z6kernelI14inclusive_scanILN6hipcub18BlockScanAlgorithmE0EEhLj256ELj3ELj100EEvPKT0_PS4_S4_,comdat
	.protected	_Z6kernelI14inclusive_scanILN6hipcub18BlockScanAlgorithmE0EEhLj256ELj3ELj100EEvPKT0_PS4_S4_ ; -- Begin function _Z6kernelI14inclusive_scanILN6hipcub18BlockScanAlgorithmE0EEhLj256ELj3ELj100EEvPKT0_PS4_S4_
	.globl	_Z6kernelI14inclusive_scanILN6hipcub18BlockScanAlgorithmE0EEhLj256ELj3ELj100EEvPKT0_PS4_S4_
	.p2align	8
	.type	_Z6kernelI14inclusive_scanILN6hipcub18BlockScanAlgorithmE0EEhLj256ELj3ELj100EEvPKT0_PS4_S4_,@function
_Z6kernelI14inclusive_scanILN6hipcub18BlockScanAlgorithmE0EEhLj256ELj3ELj100EEvPKT0_PS4_S4_: ; @_Z6kernelI14inclusive_scanILN6hipcub18BlockScanAlgorithmE0EEhLj256ELj3ELj100EEvPKT0_PS4_S4_
; %bb.0:
	s_load_dword s3, s[0:1], 0x24
	s_load_dwordx4 s[24:27], s[0:1], 0x0
	v_mov_b32_e32 v3, 0
	v_or_b32_e32 v8, 63, v0
	v_mov_b32_e32 v5, v3
	s_waitcnt lgkmcnt(0)
	s_and_b32 s0, s3, 0xffff
	s_mul_i32 s2, s2, s0
	v_add_u32_e32 v1, s2, v0
	v_lshl_add_u32 v2, v1, 1, v1
	v_add_u32_e32 v4, 1, v2
	global_load_ubyte v10, v4, s[24:25]
	global_load_ubyte v11, v2, s[24:25]
	v_add_u32_e32 v6, 2, v2
	global_load_ubyte v12, v6, s[24:25]
	v_mbcnt_lo_u32_b32 v1, -1, 0
	v_mbcnt_hi_u32_b32 v9, -1, v1
	v_add_u32_e32 v15, -1, v9
	v_and_b32_e32 v16, 64, v9
	v_cmp_lt_i32_e64 s[20:21], v15, v16
	v_lshrrev_b32_e32 v1, 6, v0
	v_and_b32_e32 v13, 15, v9
	v_and_b32_e32 v14, 16, v9
	v_cmp_lt_u32_e64 s[4:5], 31, v9
	v_cmp_eq_u32_e64 s[8:9], 0, v9
	v_and_b32_e32 v17, 3, v9
	v_cndmask_b32_e64 v9, v15, v9, s[20:21]
	v_mov_b32_e32 v7, v3
	v_cmp_gt_u32_e32 vcc, 4, v0
	v_cmp_lt_u32_e64 s[0:1], 63, v0
	v_cmp_eq_u32_e64 s[2:3], 0, v0
	v_cmp_eq_u32_e64 s[6:7], v8, v0
	v_add_u32_e32 v8, -1, v1
	v_cmp_eq_u32_e64 s[10:11], 0, v13
	v_cmp_lt_u32_e64 s[12:13], 1, v13
	v_cmp_lt_u32_e64 s[14:15], 3, v13
	;; [unrolled: 1-line block ×3, first 2 shown]
	v_cmp_eq_u32_e64 s[18:19], 0, v14
	v_cmp_eq_u32_e64 s[20:21], 0, v17
	v_cmp_lt_u32_e64 s[22:23], 1, v17
	v_lshlrev_b32_e32 v9, 2, v9
	s_movk_i32 s28, 0x64
	s_waitcnt vmcnt(2)
	v_lshlrev_b16_e32 v10, 8, v10
	s_waitcnt vmcnt(1)
	v_or_b32_e32 v10, v11, v10
	v_and_b32_e32 v10, 0xffff, v10
	s_waitcnt vmcnt(0)
	v_lshl_or_b32 v10, v12, 16, v10
	s_branch .LBB97_2
.LBB97_1:                               ;   in Loop: Header=BB97_2 Depth=1
	s_or_b64 exec, exec, s[24:25]
	v_and_b32_e32 v12, 0xff, v12
	ds_bpermute_b32 v12, v9, v12
	s_add_i32 s28, s28, -1
	s_cmp_lg_u32 s28, 0
	s_waitcnt lgkmcnt(0)
	v_cndmask_b32_e64 v12, v12, v13, s[8:9]
	v_cndmask_b32_e64 v12, v12, 0, s[2:3]
	v_add_u16_e32 v13, v12, v10
	v_add_u16_e32 v12, v13, v11
	v_add_u16_sdwa v11, v12, v10 dst_sel:DWORD dst_unused:UNUSED_PAD src0_sel:DWORD src1_sel:WORD_1
	v_lshlrev_b16_e32 v10, 8, v12
	v_and_b32_e32 v14, 0xff, v11
	v_or_b32_sdwa v10, v13, v10 dst_sel:DWORD dst_unused:UNUSED_PAD src0_sel:BYTE_0 src1_sel:DWORD
	v_lshlrev_b32_e32 v14, 16, v14
	v_or_b32_sdwa v10, v10, v14 dst_sel:DWORD dst_unused:UNUSED_PAD src0_sel:WORD_0 src1_sel:DWORD
	s_cbranch_scc0 .LBB97_8
.LBB97_2:                               ; =>This Inner Loop Header: Depth=1
	v_lshrrev_b32_e32 v11, 8, v10
	v_add_u16_e32 v12, v11, v10
	v_add_u16_sdwa v12, v12, v10 dst_sel:DWORD dst_unused:UNUSED_PAD src0_sel:DWORD src1_sel:WORD_1
	v_and_b32_e32 v13, 0xff, v12
	s_nop 1
	v_mov_b32_dpp v13, v13 row_shr:1 row_mask:0xf bank_mask:0xf
	v_cndmask_b32_e64 v13, v13, 0, s[10:11]
	v_add_u16_e32 v12, v13, v12
	v_and_b32_e32 v13, 0xff, v12
	s_nop 1
	v_mov_b32_dpp v13, v13 row_shr:2 row_mask:0xf bank_mask:0xf
	v_cndmask_b32_e64 v13, 0, v13, s[12:13]
	v_add_u16_e32 v12, v12, v13
	;; [unrolled: 5-line block ×4, first 2 shown]
	v_and_b32_e32 v13, 0xff, v12
	s_nop 1
	v_mov_b32_dpp v13, v13 row_bcast:15 row_mask:0xf bank_mask:0xf
	v_cndmask_b32_e64 v13, v13, 0, s[18:19]
	v_add_u16_e32 v12, v12, v13
	v_and_b32_e32 v13, 0xff, v12
	s_nop 1
	v_mov_b32_dpp v13, v13 row_bcast:31 row_mask:0xf bank_mask:0xf
	v_cndmask_b32_e64 v13, 0, v13, s[4:5]
	v_add_u16_e32 v12, v12, v13
	s_and_saveexec_b64 s[24:25], s[6:7]
	s_cbranch_execz .LBB97_4
; %bb.3:                                ;   in Loop: Header=BB97_2 Depth=1
	ds_write_b8 v1, v12
.LBB97_4:                               ;   in Loop: Header=BB97_2 Depth=1
	s_or_b64 exec, exec, s[24:25]
	s_waitcnt lgkmcnt(0)
	s_barrier
	s_and_saveexec_b64 s[24:25], vcc
	s_cbranch_execz .LBB97_6
; %bb.5:                                ;   in Loop: Header=BB97_2 Depth=1
	ds_read_u8 v13, v0
	s_waitcnt lgkmcnt(0)
	v_and_b32_e32 v14, 0xff, v13
	s_nop 1
	v_mov_b32_dpp v14, v14 row_shr:1 row_mask:0xf bank_mask:0xf
	v_cndmask_b32_e64 v14, v14, 0, s[20:21]
	v_add_u16_e32 v13, v14, v13
	v_and_b32_e32 v14, 0xff, v13
	s_nop 1
	v_mov_b32_dpp v14, v14 row_shr:2 row_mask:0xf bank_mask:0xf
	v_cndmask_b32_e64 v14, 0, v14, s[22:23]
	v_add_u16_e32 v13, v13, v14
	ds_write_b8 v0, v13
.LBB97_6:                               ;   in Loop: Header=BB97_2 Depth=1
	s_or_b64 exec, exec, s[24:25]
	s_waitcnt lgkmcnt(0)
	s_barrier
	s_waitcnt lgkmcnt(0)
                                        ; implicit-def: $vgpr13
	s_and_saveexec_b64 s[24:25], s[0:1]
	s_cbranch_execz .LBB97_1
; %bb.7:                                ;   in Loop: Header=BB97_2 Depth=1
	ds_read_u8 v13, v8
	s_waitcnt lgkmcnt(0)
	v_add_u16_e32 v12, v13, v12
	s_branch .LBB97_1
.LBB97_8:
	v_lshl_add_u64 v[0:1], s[26:27], 0, v[2:3]
	global_store_byte v[0:1], v13, off
	v_lshl_add_u64 v[0:1], s[26:27], 0, v[4:5]
	global_store_byte v[0:1], v12, off
	;; [unrolled: 2-line block ×3, first 2 shown]
	s_endpgm
	.section	.rodata,"a",@progbits
	.p2align	6, 0x0
	.amdhsa_kernel _Z6kernelI14inclusive_scanILN6hipcub18BlockScanAlgorithmE0EEhLj256ELj3ELj100EEvPKT0_PS4_S4_
		.amdhsa_group_segment_fixed_size 4
		.amdhsa_private_segment_fixed_size 0
		.amdhsa_kernarg_size 280
		.amdhsa_user_sgpr_count 2
		.amdhsa_user_sgpr_dispatch_ptr 0
		.amdhsa_user_sgpr_queue_ptr 0
		.amdhsa_user_sgpr_kernarg_segment_ptr 1
		.amdhsa_user_sgpr_dispatch_id 0
		.amdhsa_user_sgpr_kernarg_preload_length 0
		.amdhsa_user_sgpr_kernarg_preload_offset 0
		.amdhsa_user_sgpr_private_segment_size 0
		.amdhsa_uses_dynamic_stack 0
		.amdhsa_enable_private_segment 0
		.amdhsa_system_sgpr_workgroup_id_x 1
		.amdhsa_system_sgpr_workgroup_id_y 0
		.amdhsa_system_sgpr_workgroup_id_z 0
		.amdhsa_system_sgpr_workgroup_info 0
		.amdhsa_system_vgpr_workitem_id 0
		.amdhsa_next_free_vgpr 18
		.amdhsa_next_free_sgpr 29
		.amdhsa_accum_offset 20
		.amdhsa_reserve_vcc 1
		.amdhsa_float_round_mode_32 0
		.amdhsa_float_round_mode_16_64 0
		.amdhsa_float_denorm_mode_32 3
		.amdhsa_float_denorm_mode_16_64 3
		.amdhsa_dx10_clamp 1
		.amdhsa_ieee_mode 1
		.amdhsa_fp16_overflow 0
		.amdhsa_tg_split 0
		.amdhsa_exception_fp_ieee_invalid_op 0
		.amdhsa_exception_fp_denorm_src 0
		.amdhsa_exception_fp_ieee_div_zero 0
		.amdhsa_exception_fp_ieee_overflow 0
		.amdhsa_exception_fp_ieee_underflow 0
		.amdhsa_exception_fp_ieee_inexact 0
		.amdhsa_exception_int_div_zero 0
	.end_amdhsa_kernel
	.section	.text._Z6kernelI14inclusive_scanILN6hipcub18BlockScanAlgorithmE0EEhLj256ELj3ELj100EEvPKT0_PS4_S4_,"axG",@progbits,_Z6kernelI14inclusive_scanILN6hipcub18BlockScanAlgorithmE0EEhLj256ELj3ELj100EEvPKT0_PS4_S4_,comdat
.Lfunc_end97:
	.size	_Z6kernelI14inclusive_scanILN6hipcub18BlockScanAlgorithmE0EEhLj256ELj3ELj100EEvPKT0_PS4_S4_, .Lfunc_end97-_Z6kernelI14inclusive_scanILN6hipcub18BlockScanAlgorithmE0EEhLj256ELj3ELj100EEvPKT0_PS4_S4_
                                        ; -- End function
	.section	.AMDGPU.csdata,"",@progbits
; Kernel info:
; codeLenInByte = 824
; NumSgprs: 35
; NumVgprs: 18
; NumAgprs: 0
; TotalNumVgprs: 18
; ScratchSize: 0
; MemoryBound: 0
; FloatMode: 240
; IeeeMode: 1
; LDSByteSize: 4 bytes/workgroup (compile time only)
; SGPRBlocks: 4
; VGPRBlocks: 2
; NumSGPRsForWavesPerEU: 35
; NumVGPRsForWavesPerEU: 18
; AccumOffset: 20
; Occupancy: 8
; WaveLimiterHint : 0
; COMPUTE_PGM_RSRC2:SCRATCH_EN: 0
; COMPUTE_PGM_RSRC2:USER_SGPR: 2
; COMPUTE_PGM_RSRC2:TRAP_HANDLER: 0
; COMPUTE_PGM_RSRC2:TGID_X_EN: 1
; COMPUTE_PGM_RSRC2:TGID_Y_EN: 0
; COMPUTE_PGM_RSRC2:TGID_Z_EN: 0
; COMPUTE_PGM_RSRC2:TIDIG_COMP_CNT: 0
; COMPUTE_PGM_RSRC3_GFX90A:ACCUM_OFFSET: 4
; COMPUTE_PGM_RSRC3_GFX90A:TG_SPLIT: 0
	.section	.text._Z6kernelI14inclusive_scanILN6hipcub18BlockScanAlgorithmE0EEhLj256ELj4ELj100EEvPKT0_PS4_S4_,"axG",@progbits,_Z6kernelI14inclusive_scanILN6hipcub18BlockScanAlgorithmE0EEhLj256ELj4ELj100EEvPKT0_PS4_S4_,comdat
	.protected	_Z6kernelI14inclusive_scanILN6hipcub18BlockScanAlgorithmE0EEhLj256ELj4ELj100EEvPKT0_PS4_S4_ ; -- Begin function _Z6kernelI14inclusive_scanILN6hipcub18BlockScanAlgorithmE0EEhLj256ELj4ELj100EEvPKT0_PS4_S4_
	.globl	_Z6kernelI14inclusive_scanILN6hipcub18BlockScanAlgorithmE0EEhLj256ELj4ELj100EEvPKT0_PS4_S4_
	.p2align	8
	.type	_Z6kernelI14inclusive_scanILN6hipcub18BlockScanAlgorithmE0EEhLj256ELj4ELj100EEvPKT0_PS4_S4_,@function
_Z6kernelI14inclusive_scanILN6hipcub18BlockScanAlgorithmE0EEhLj256ELj4ELj100EEvPKT0_PS4_S4_: ; @_Z6kernelI14inclusive_scanILN6hipcub18BlockScanAlgorithmE0EEhLj256ELj4ELj100EEvPKT0_PS4_S4_
; %bb.0:
	s_load_dword s3, s[0:1], 0x24
	s_load_dwordx4 s[24:27], s[0:1], 0x0
	v_mbcnt_lo_u32_b32 v4, -1, 0
	v_mbcnt_hi_u32_b32 v6, -1, v4
	v_or_b32_e32 v5, 63, v0
	s_waitcnt lgkmcnt(0)
	s_and_b32 s0, s3, 0xffff
	s_mul_i32 s2, s2, s0
	v_add_lshl_u32 v2, s2, v0, 2
	global_load_dword v1, v2, s[24:25]
	v_and_b32_e32 v4, 15, v6
	v_cmp_eq_u32_e64 s[10:11], v5, v0
	v_add_u32_e32 v5, -1, v6
	v_and_b32_e32 v7, 64, v6
	v_cmp_eq_u32_e32 vcc, 0, v4
	v_cmp_lt_u32_e64 s[0:1], 1, v4
	v_cmp_lt_u32_e64 s[2:3], 3, v4
	;; [unrolled: 1-line block ×3, first 2 shown]
	v_and_b32_e32 v4, 16, v6
	v_cmp_lt_i32_e64 s[16:17], v5, v7
	v_cmp_eq_u32_e64 s[6:7], 0, v4
	v_cmp_lt_u32_e64 s[8:9], 31, v6
	v_lshrrev_b32_e32 v4, 6, v0
	v_cndmask_b32_e64 v5, v5, v6, s[16:17]
	v_cmp_eq_u32_e64 s[18:19], 0, v6
	v_and_b32_e32 v6, 3, v6
	v_mov_b32_e32 v3, 0
	v_cmp_gt_u32_e64 s[12:13], 4, v0
	v_cmp_lt_u32_e64 s[14:15], 63, v0
	v_lshlrev_b32_e32 v5, 2, v5
	v_cmp_eq_u32_e64 s[16:17], 0, v0
	v_cmp_eq_u32_e64 s[20:21], 0, v6
	v_cmp_lt_u32_e64 s[22:23], 1, v6
	v_add_u32_e32 v6, -1, v4
	s_movk_i32 s28, 0x64
	s_branch .LBB98_2
.LBB98_1:                               ;   in Loop: Header=BB98_2 Depth=1
	s_or_b64 exec, exec, s[24:25]
	v_and_b32_e32 v8, 0xff, v8
	ds_bpermute_b32 v8, v5, v8
	s_add_i32 s28, s28, -1
	s_cmp_lg_u32 s28, 0
	s_waitcnt lgkmcnt(0)
	v_cndmask_b32_e64 v8, v8, v9, s[18:19]
	v_cndmask_b32_e64 v8, v8, 0, s[16:17]
	v_add_u16_e32 v8, v8, v1
	v_add_u16_e32 v7, v8, v7
	v_add_u16_sdwa v9, v7, v1 dst_sel:DWORD dst_unused:UNUSED_PAD src0_sel:DWORD src1_sel:WORD_1
	v_add_u16_sdwa v1, v9, v1 dst_sel:DWORD dst_unused:UNUSED_PAD src0_sel:DWORD src1_sel:BYTE_3
	v_lshlrev_b16_e32 v7, 8, v7
	v_lshlrev_b16_e32 v1, 8, v1
	v_or_b32_sdwa v7, v8, v7 dst_sel:DWORD dst_unused:UNUSED_PAD src0_sel:BYTE_0 src1_sel:DWORD
	v_or_b32_sdwa v1, v9, v1 dst_sel:WORD_1 dst_unused:UNUSED_PAD src0_sel:BYTE_0 src1_sel:DWORD
	s_nop 0
	v_or_b32_sdwa v1, v7, v1 dst_sel:DWORD dst_unused:UNUSED_PAD src0_sel:WORD_0 src1_sel:DWORD
	s_cbranch_scc0 .LBB98_8
.LBB98_2:                               ; =>This Inner Loop Header: Depth=1
	s_waitcnt vmcnt(0)
	v_lshrrev_b32_e32 v7, 8, v1
	v_add_u16_e32 v8, v7, v1
	v_add_u16_sdwa v8, v8, v1 dst_sel:DWORD dst_unused:UNUSED_PAD src0_sel:DWORD src1_sel:WORD_1
	v_add_u16_sdwa v8, v8, v1 dst_sel:DWORD dst_unused:UNUSED_PAD src0_sel:DWORD src1_sel:BYTE_3
	v_and_b32_e32 v9, 0xff, v8
	s_nop 1
	v_mov_b32_dpp v9, v9 row_shr:1 row_mask:0xf bank_mask:0xf
	v_cndmask_b32_e64 v9, v9, 0, vcc
	v_add_u16_e32 v8, v8, v9
	v_and_b32_e32 v9, 0xff, v8
	s_nop 1
	v_mov_b32_dpp v9, v9 row_shr:2 row_mask:0xf bank_mask:0xf
	v_cndmask_b32_e64 v9, 0, v9, s[0:1]
	v_add_u16_e32 v8, v8, v9
	v_and_b32_e32 v9, 0xff, v8
	s_nop 1
	v_mov_b32_dpp v9, v9 row_shr:4 row_mask:0xf bank_mask:0xf
	v_cndmask_b32_e64 v9, 0, v9, s[2:3]
	;; [unrolled: 5-line block ×3, first 2 shown]
	v_add_u16_e32 v8, v8, v9
	v_and_b32_e32 v9, 0xff, v8
	s_nop 1
	v_mov_b32_dpp v9, v9 row_bcast:15 row_mask:0xf bank_mask:0xf
	v_cndmask_b32_e64 v9, v9, 0, s[6:7]
	v_add_u16_e32 v8, v8, v9
	v_and_b32_e32 v9, 0xff, v8
	s_nop 1
	v_mov_b32_dpp v9, v9 row_bcast:31 row_mask:0xf bank_mask:0xf
	v_cndmask_b32_e64 v9, 0, v9, s[8:9]
	v_add_u16_e32 v8, v8, v9
	s_and_saveexec_b64 s[24:25], s[10:11]
	s_cbranch_execz .LBB98_4
; %bb.3:                                ;   in Loop: Header=BB98_2 Depth=1
	ds_write_b8 v4, v8
.LBB98_4:                               ;   in Loop: Header=BB98_2 Depth=1
	s_or_b64 exec, exec, s[24:25]
	s_waitcnt lgkmcnt(0)
	s_barrier
	s_and_saveexec_b64 s[24:25], s[12:13]
	s_cbranch_execz .LBB98_6
; %bb.5:                                ;   in Loop: Header=BB98_2 Depth=1
	ds_read_u8 v9, v0
	s_waitcnt lgkmcnt(0)
	v_and_b32_e32 v10, 0xff, v9
	s_nop 1
	v_mov_b32_dpp v10, v10 row_shr:1 row_mask:0xf bank_mask:0xf
	v_cndmask_b32_e64 v10, v10, 0, s[20:21]
	v_add_u16_e32 v9, v10, v9
	v_and_b32_e32 v10, 0xff, v9
	s_nop 1
	v_mov_b32_dpp v10, v10 row_shr:2 row_mask:0xf bank_mask:0xf
	v_cndmask_b32_e64 v10, 0, v10, s[22:23]
	v_add_u16_e32 v9, v9, v10
	ds_write_b8 v0, v9
.LBB98_6:                               ;   in Loop: Header=BB98_2 Depth=1
	s_or_b64 exec, exec, s[24:25]
	s_waitcnt lgkmcnt(0)
	s_barrier
	s_waitcnt lgkmcnt(0)
                                        ; implicit-def: $vgpr9
	s_and_saveexec_b64 s[24:25], s[14:15]
	s_cbranch_execz .LBB98_1
; %bb.7:                                ;   in Loop: Header=BB98_2 Depth=1
	ds_read_u8 v9, v6
	s_waitcnt lgkmcnt(0)
	v_add_u16_e32 v8, v9, v8
	s_branch .LBB98_1
.LBB98_8:
	v_lshl_add_u64 v[2:3], s[26:27], 0, v[2:3]
	global_store_dword v[2:3], v1, off
	s_endpgm
	.section	.rodata,"a",@progbits
	.p2align	6, 0x0
	.amdhsa_kernel _Z6kernelI14inclusive_scanILN6hipcub18BlockScanAlgorithmE0EEhLj256ELj4ELj100EEvPKT0_PS4_S4_
		.amdhsa_group_segment_fixed_size 4
		.amdhsa_private_segment_fixed_size 0
		.amdhsa_kernarg_size 280
		.amdhsa_user_sgpr_count 2
		.amdhsa_user_sgpr_dispatch_ptr 0
		.amdhsa_user_sgpr_queue_ptr 0
		.amdhsa_user_sgpr_kernarg_segment_ptr 1
		.amdhsa_user_sgpr_dispatch_id 0
		.amdhsa_user_sgpr_kernarg_preload_length 0
		.amdhsa_user_sgpr_kernarg_preload_offset 0
		.amdhsa_user_sgpr_private_segment_size 0
		.amdhsa_uses_dynamic_stack 0
		.amdhsa_enable_private_segment 0
		.amdhsa_system_sgpr_workgroup_id_x 1
		.amdhsa_system_sgpr_workgroup_id_y 0
		.amdhsa_system_sgpr_workgroup_id_z 0
		.amdhsa_system_sgpr_workgroup_info 0
		.amdhsa_system_vgpr_workitem_id 0
		.amdhsa_next_free_vgpr 11
		.amdhsa_next_free_sgpr 29
		.amdhsa_accum_offset 12
		.amdhsa_reserve_vcc 1
		.amdhsa_float_round_mode_32 0
		.amdhsa_float_round_mode_16_64 0
		.amdhsa_float_denorm_mode_32 3
		.amdhsa_float_denorm_mode_16_64 3
		.amdhsa_dx10_clamp 1
		.amdhsa_ieee_mode 1
		.amdhsa_fp16_overflow 0
		.amdhsa_tg_split 0
		.amdhsa_exception_fp_ieee_invalid_op 0
		.amdhsa_exception_fp_denorm_src 0
		.amdhsa_exception_fp_ieee_div_zero 0
		.amdhsa_exception_fp_ieee_overflow 0
		.amdhsa_exception_fp_ieee_underflow 0
		.amdhsa_exception_fp_ieee_inexact 0
		.amdhsa_exception_int_div_zero 0
	.end_amdhsa_kernel
	.section	.text._Z6kernelI14inclusive_scanILN6hipcub18BlockScanAlgorithmE0EEhLj256ELj4ELj100EEvPKT0_PS4_S4_,"axG",@progbits,_Z6kernelI14inclusive_scanILN6hipcub18BlockScanAlgorithmE0EEhLj256ELj4ELj100EEvPKT0_PS4_S4_,comdat
.Lfunc_end98:
	.size	_Z6kernelI14inclusive_scanILN6hipcub18BlockScanAlgorithmE0EEhLj256ELj4ELj100EEvPKT0_PS4_S4_, .Lfunc_end98-_Z6kernelI14inclusive_scanILN6hipcub18BlockScanAlgorithmE0EEhLj256ELj4ELj100EEvPKT0_PS4_S4_
                                        ; -- End function
	.section	.AMDGPU.csdata,"",@progbits
; Kernel info:
; codeLenInByte = 744
; NumSgprs: 35
; NumVgprs: 11
; NumAgprs: 0
; TotalNumVgprs: 11
; ScratchSize: 0
; MemoryBound: 0
; FloatMode: 240
; IeeeMode: 1
; LDSByteSize: 4 bytes/workgroup (compile time only)
; SGPRBlocks: 4
; VGPRBlocks: 1
; NumSGPRsForWavesPerEU: 35
; NumVGPRsForWavesPerEU: 11
; AccumOffset: 12
; Occupancy: 8
; WaveLimiterHint : 0
; COMPUTE_PGM_RSRC2:SCRATCH_EN: 0
; COMPUTE_PGM_RSRC2:USER_SGPR: 2
; COMPUTE_PGM_RSRC2:TRAP_HANDLER: 0
; COMPUTE_PGM_RSRC2:TGID_X_EN: 1
; COMPUTE_PGM_RSRC2:TGID_Y_EN: 0
; COMPUTE_PGM_RSRC2:TGID_Z_EN: 0
; COMPUTE_PGM_RSRC2:TIDIG_COMP_CNT: 0
; COMPUTE_PGM_RSRC3_GFX90A:ACCUM_OFFSET: 2
; COMPUTE_PGM_RSRC3_GFX90A:TG_SPLIT: 0
	.section	.text._Z6kernelI14inclusive_scanILN6hipcub18BlockScanAlgorithmE0EEhLj256ELj8ELj100EEvPKT0_PS4_S4_,"axG",@progbits,_Z6kernelI14inclusive_scanILN6hipcub18BlockScanAlgorithmE0EEhLj256ELj8ELj100EEvPKT0_PS4_S4_,comdat
	.protected	_Z6kernelI14inclusive_scanILN6hipcub18BlockScanAlgorithmE0EEhLj256ELj8ELj100EEvPKT0_PS4_S4_ ; -- Begin function _Z6kernelI14inclusive_scanILN6hipcub18BlockScanAlgorithmE0EEhLj256ELj8ELj100EEvPKT0_PS4_S4_
	.globl	_Z6kernelI14inclusive_scanILN6hipcub18BlockScanAlgorithmE0EEhLj256ELj8ELj100EEvPKT0_PS4_S4_
	.p2align	8
	.type	_Z6kernelI14inclusive_scanILN6hipcub18BlockScanAlgorithmE0EEhLj256ELj8ELj100EEvPKT0_PS4_S4_,@function
_Z6kernelI14inclusive_scanILN6hipcub18BlockScanAlgorithmE0EEhLj256ELj8ELj100EEvPKT0_PS4_S4_: ; @_Z6kernelI14inclusive_scanILN6hipcub18BlockScanAlgorithmE0EEhLj256ELj8ELj100EEvPKT0_PS4_S4_
; %bb.0:
	s_load_dword s3, s[0:1], 0x24
	s_load_dwordx4 s[24:27], s[0:1], 0x0
	v_mbcnt_lo_u32_b32 v1, -1, 0
	v_mbcnt_hi_u32_b32 v7, -1, v1
	v_or_b32_e32 v6, 63, v0
	s_waitcnt lgkmcnt(0)
	s_and_b32 s0, s3, 0xffff
	s_mul_i32 s2, s2, s0
	v_add_lshl_u32 v2, s2, v0, 3
	global_load_dwordx2 v[4:5], v2, s[24:25]
	v_and_b32_e32 v1, 15, v7
	v_cmp_eq_u32_e64 s[10:11], v6, v0
	v_add_u32_e32 v6, -1, v7
	v_and_b32_e32 v8, 64, v7
	v_cmp_eq_u32_e32 vcc, 0, v1
	v_cmp_lt_u32_e64 s[0:1], 1, v1
	v_cmp_lt_u32_e64 s[2:3], 3, v1
	;; [unrolled: 1-line block ×3, first 2 shown]
	v_and_b32_e32 v1, 16, v7
	v_cmp_lt_i32_e64 s[16:17], v6, v8
	v_cmp_eq_u32_e64 s[6:7], 0, v1
	v_cmp_lt_u32_e64 s[8:9], 31, v7
	v_lshrrev_b32_e32 v1, 6, v0
	v_cndmask_b32_e64 v6, v6, v7, s[16:17]
	v_cmp_eq_u32_e64 s[18:19], 0, v7
	v_and_b32_e32 v7, 3, v7
	v_mov_b32_e32 v3, 0
	v_cmp_gt_u32_e64 s[12:13], 4, v0
	v_cmp_lt_u32_e64 s[14:15], 63, v0
	v_lshlrev_b32_e32 v6, 2, v6
	v_cmp_eq_u32_e64 s[16:17], 0, v0
	v_cmp_eq_u32_e64 s[20:21], 0, v7
	v_cmp_lt_u32_e64 s[22:23], 1, v7
	v_add_u32_e32 v7, -1, v1
	s_movk_i32 s28, 0x64
	s_branch .LBB99_2
.LBB99_1:                               ;   in Loop: Header=BB99_2 Depth=1
	s_or_b64 exec, exec, s[24:25]
	v_and_b32_e32 v10, 0xff, v10
	ds_bpermute_b32 v10, v6, v10
	s_add_i32 s28, s28, -1
	s_cmp_lg_u32 s28, 0
	s_waitcnt lgkmcnt(0)
	v_cndmask_b32_e64 v10, v10, v11, s[18:19]
	v_cndmask_b32_e64 v10, v10, 0, s[16:17]
	v_add_u16_e32 v10, v10, v4
	v_add_u16_e32 v9, v10, v9
	v_add_u16_sdwa v11, v9, v4 dst_sel:DWORD dst_unused:UNUSED_PAD src0_sel:DWORD src1_sel:WORD_1
	v_lshlrev_b16_e32 v9, 8, v9
	v_add_u16_sdwa v4, v11, v4 dst_sel:DWORD dst_unused:UNUSED_PAD src0_sel:DWORD src1_sel:BYTE_3
	v_or_b32_sdwa v9, v10, v9 dst_sel:DWORD dst_unused:UNUSED_PAD src0_sel:BYTE_0 src1_sel:DWORD
	v_add_u16_e32 v10, v4, v5
	v_lshlrev_b16_e32 v4, 8, v4
	v_add_u16_e32 v8, v10, v8
	v_or_b32_sdwa v4, v11, v4 dst_sel:WORD_1 dst_unused:UNUSED_PAD src0_sel:BYTE_0 src1_sel:DWORD
	v_add_u16_sdwa v11, v8, v5 dst_sel:DWORD dst_unused:UNUSED_PAD src0_sel:DWORD src1_sel:WORD_1
	v_add_u16_sdwa v5, v11, v5 dst_sel:DWORD dst_unused:UNUSED_PAD src0_sel:DWORD src1_sel:BYTE_3
	v_lshlrev_b16_e32 v8, 8, v8
	v_lshlrev_b16_e32 v5, 8, v5
	v_or_b32_sdwa v8, v10, v8 dst_sel:DWORD dst_unused:UNUSED_PAD src0_sel:BYTE_0 src1_sel:DWORD
	v_or_b32_sdwa v5, v11, v5 dst_sel:WORD_1 dst_unused:UNUSED_PAD src0_sel:BYTE_0 src1_sel:DWORD
	v_or_b32_sdwa v4, v9, v4 dst_sel:DWORD dst_unused:UNUSED_PAD src0_sel:WORD_0 src1_sel:DWORD
	v_or_b32_sdwa v5, v8, v5 dst_sel:DWORD dst_unused:UNUSED_PAD src0_sel:WORD_0 src1_sel:DWORD
	s_cbranch_scc0 .LBB99_8
.LBB99_2:                               ; =>This Inner Loop Header: Depth=1
	s_waitcnt vmcnt(0)
	v_lshrrev_b32_e32 v9, 8, v4
	v_add_u16_e32 v10, v9, v4
	v_add_u16_sdwa v10, v10, v4 dst_sel:DWORD dst_unused:UNUSED_PAD src0_sel:DWORD src1_sel:WORD_1
	v_add_u16_sdwa v10, v10, v4 dst_sel:DWORD dst_unused:UNUSED_PAD src0_sel:DWORD src1_sel:BYTE_3
	v_lshrrev_b32_e32 v8, 8, v5
	v_add_u16_e32 v10, v10, v5
	v_add_u16_e32 v10, v10, v8
	v_add_u16_sdwa v10, v10, v5 dst_sel:DWORD dst_unused:UNUSED_PAD src0_sel:DWORD src1_sel:WORD_1
	v_add_u16_sdwa v10, v10, v5 dst_sel:DWORD dst_unused:UNUSED_PAD src0_sel:DWORD src1_sel:BYTE_3
	v_and_b32_e32 v11, 0xff, v10
	s_nop 1
	v_mov_b32_dpp v11, v11 row_shr:1 row_mask:0xf bank_mask:0xf
	v_cndmask_b32_e64 v11, v11, 0, vcc
	v_add_u16_e32 v10, v10, v11
	v_and_b32_e32 v11, 0xff, v10
	s_nop 1
	v_mov_b32_dpp v11, v11 row_shr:2 row_mask:0xf bank_mask:0xf
	v_cndmask_b32_e64 v11, 0, v11, s[0:1]
	v_add_u16_e32 v10, v10, v11
	v_and_b32_e32 v11, 0xff, v10
	s_nop 1
	v_mov_b32_dpp v11, v11 row_shr:4 row_mask:0xf bank_mask:0xf
	v_cndmask_b32_e64 v11, 0, v11, s[2:3]
	v_add_u16_e32 v10, v10, v11
	v_and_b32_e32 v11, 0xff, v10
	s_nop 1
	v_mov_b32_dpp v11, v11 row_shr:8 row_mask:0xf bank_mask:0xf
	v_cndmask_b32_e64 v11, 0, v11, s[4:5]
	v_add_u16_e32 v10, v10, v11
	v_and_b32_e32 v11, 0xff, v10
	s_nop 1
	v_mov_b32_dpp v11, v11 row_bcast:15 row_mask:0xf bank_mask:0xf
	v_cndmask_b32_e64 v11, v11, 0, s[6:7]
	v_add_u16_e32 v10, v10, v11
	v_and_b32_e32 v11, 0xff, v10
	s_nop 1
	v_mov_b32_dpp v11, v11 row_bcast:31 row_mask:0xf bank_mask:0xf
	v_cndmask_b32_e64 v11, 0, v11, s[8:9]
	v_add_u16_e32 v10, v10, v11
	s_and_saveexec_b64 s[24:25], s[10:11]
	s_cbranch_execz .LBB99_4
; %bb.3:                                ;   in Loop: Header=BB99_2 Depth=1
	ds_write_b8 v1, v10
.LBB99_4:                               ;   in Loop: Header=BB99_2 Depth=1
	s_or_b64 exec, exec, s[24:25]
	s_waitcnt lgkmcnt(0)
	s_barrier
	s_and_saveexec_b64 s[24:25], s[12:13]
	s_cbranch_execz .LBB99_6
; %bb.5:                                ;   in Loop: Header=BB99_2 Depth=1
	ds_read_u8 v11, v0
	s_waitcnt lgkmcnt(0)
	v_and_b32_e32 v12, 0xff, v11
	s_nop 1
	v_mov_b32_dpp v12, v12 row_shr:1 row_mask:0xf bank_mask:0xf
	v_cndmask_b32_e64 v12, v12, 0, s[20:21]
	v_add_u16_e32 v11, v12, v11
	v_and_b32_e32 v12, 0xff, v11
	s_nop 1
	v_mov_b32_dpp v12, v12 row_shr:2 row_mask:0xf bank_mask:0xf
	v_cndmask_b32_e64 v12, 0, v12, s[22:23]
	v_add_u16_e32 v11, v11, v12
	ds_write_b8 v0, v11
.LBB99_6:                               ;   in Loop: Header=BB99_2 Depth=1
	s_or_b64 exec, exec, s[24:25]
	s_waitcnt lgkmcnt(0)
	s_barrier
	s_waitcnt lgkmcnt(0)
                                        ; implicit-def: $vgpr11
	s_and_saveexec_b64 s[24:25], s[14:15]
	s_cbranch_execz .LBB99_1
; %bb.7:                                ;   in Loop: Header=BB99_2 Depth=1
	ds_read_u8 v11, v7
	s_waitcnt lgkmcnt(0)
	v_add_u16_e32 v10, v11, v10
	s_branch .LBB99_1
.LBB99_8:
	v_lshl_add_u64 v[0:1], s[26:27], 0, v[2:3]
	global_store_dwordx2 v[0:1], v[4:5], off
	s_endpgm
	.section	.rodata,"a",@progbits
	.p2align	6, 0x0
	.amdhsa_kernel _Z6kernelI14inclusive_scanILN6hipcub18BlockScanAlgorithmE0EEhLj256ELj8ELj100EEvPKT0_PS4_S4_
		.amdhsa_group_segment_fixed_size 4
		.amdhsa_private_segment_fixed_size 0
		.amdhsa_kernarg_size 280
		.amdhsa_user_sgpr_count 2
		.amdhsa_user_sgpr_dispatch_ptr 0
		.amdhsa_user_sgpr_queue_ptr 0
		.amdhsa_user_sgpr_kernarg_segment_ptr 1
		.amdhsa_user_sgpr_dispatch_id 0
		.amdhsa_user_sgpr_kernarg_preload_length 0
		.amdhsa_user_sgpr_kernarg_preload_offset 0
		.amdhsa_user_sgpr_private_segment_size 0
		.amdhsa_uses_dynamic_stack 0
		.amdhsa_enable_private_segment 0
		.amdhsa_system_sgpr_workgroup_id_x 1
		.amdhsa_system_sgpr_workgroup_id_y 0
		.amdhsa_system_sgpr_workgroup_id_z 0
		.amdhsa_system_sgpr_workgroup_info 0
		.amdhsa_system_vgpr_workitem_id 0
		.amdhsa_next_free_vgpr 13
		.amdhsa_next_free_sgpr 29
		.amdhsa_accum_offset 16
		.amdhsa_reserve_vcc 1
		.amdhsa_float_round_mode_32 0
		.amdhsa_float_round_mode_16_64 0
		.amdhsa_float_denorm_mode_32 3
		.amdhsa_float_denorm_mode_16_64 3
		.amdhsa_dx10_clamp 1
		.amdhsa_ieee_mode 1
		.amdhsa_fp16_overflow 0
		.amdhsa_tg_split 0
		.amdhsa_exception_fp_ieee_invalid_op 0
		.amdhsa_exception_fp_denorm_src 0
		.amdhsa_exception_fp_ieee_div_zero 0
		.amdhsa_exception_fp_ieee_overflow 0
		.amdhsa_exception_fp_ieee_underflow 0
		.amdhsa_exception_fp_ieee_inexact 0
		.amdhsa_exception_int_div_zero 0
	.end_amdhsa_kernel
	.section	.text._Z6kernelI14inclusive_scanILN6hipcub18BlockScanAlgorithmE0EEhLj256ELj8ELj100EEvPKT0_PS4_S4_,"axG",@progbits,_Z6kernelI14inclusive_scanILN6hipcub18BlockScanAlgorithmE0EEhLj256ELj8ELj100EEvPKT0_PS4_S4_,comdat
.Lfunc_end99:
	.size	_Z6kernelI14inclusive_scanILN6hipcub18BlockScanAlgorithmE0EEhLj256ELj8ELj100EEvPKT0_PS4_S4_, .Lfunc_end99-_Z6kernelI14inclusive_scanILN6hipcub18BlockScanAlgorithmE0EEhLj256ELj8ELj100EEvPKT0_PS4_S4_
                                        ; -- End function
	.section	.AMDGPU.csdata,"",@progbits
; Kernel info:
; codeLenInByte = 824
; NumSgprs: 35
; NumVgprs: 13
; NumAgprs: 0
; TotalNumVgprs: 13
; ScratchSize: 0
; MemoryBound: 0
; FloatMode: 240
; IeeeMode: 1
; LDSByteSize: 4 bytes/workgroup (compile time only)
; SGPRBlocks: 4
; VGPRBlocks: 1
; NumSGPRsForWavesPerEU: 35
; NumVGPRsForWavesPerEU: 13
; AccumOffset: 16
; Occupancy: 8
; WaveLimiterHint : 0
; COMPUTE_PGM_RSRC2:SCRATCH_EN: 0
; COMPUTE_PGM_RSRC2:USER_SGPR: 2
; COMPUTE_PGM_RSRC2:TRAP_HANDLER: 0
; COMPUTE_PGM_RSRC2:TGID_X_EN: 1
; COMPUTE_PGM_RSRC2:TGID_Y_EN: 0
; COMPUTE_PGM_RSRC2:TGID_Z_EN: 0
; COMPUTE_PGM_RSRC2:TIDIG_COMP_CNT: 0
; COMPUTE_PGM_RSRC3_GFX90A:ACCUM_OFFSET: 3
; COMPUTE_PGM_RSRC3_GFX90A:TG_SPLIT: 0
	.section	.text._Z6kernelI14inclusive_scanILN6hipcub18BlockScanAlgorithmE0EEhLj256ELj11ELj100EEvPKT0_PS4_S4_,"axG",@progbits,_Z6kernelI14inclusive_scanILN6hipcub18BlockScanAlgorithmE0EEhLj256ELj11ELj100EEvPKT0_PS4_S4_,comdat
	.protected	_Z6kernelI14inclusive_scanILN6hipcub18BlockScanAlgorithmE0EEhLj256ELj11ELj100EEvPKT0_PS4_S4_ ; -- Begin function _Z6kernelI14inclusive_scanILN6hipcub18BlockScanAlgorithmE0EEhLj256ELj11ELj100EEvPKT0_PS4_S4_
	.globl	_Z6kernelI14inclusive_scanILN6hipcub18BlockScanAlgorithmE0EEhLj256ELj11ELj100EEvPKT0_PS4_S4_
	.p2align	8
	.type	_Z6kernelI14inclusive_scanILN6hipcub18BlockScanAlgorithmE0EEhLj256ELj11ELj100EEvPKT0_PS4_S4_,@function
_Z6kernelI14inclusive_scanILN6hipcub18BlockScanAlgorithmE0EEhLj256ELj11ELj100EEvPKT0_PS4_S4_: ; @_Z6kernelI14inclusive_scanILN6hipcub18BlockScanAlgorithmE0EEhLj256ELj11ELj100EEvPKT0_PS4_S4_
; %bb.0:
	s_load_dword s3, s[0:1], 0x24
	s_load_dwordx4 s[24:27], s[0:1], 0x0
	v_mbcnt_lo_u32_b32 v26, -1, 0
	v_mbcnt_hi_u32_b32 v28, -1, v26
	v_add_u32_e32 v39, -1, v28
	s_waitcnt lgkmcnt(0)
	s_and_b32 s0, s3, 0xffff
	s_mul_i32 s2, s2, s0
	v_add_u32_e32 v1, s2, v0
	v_mul_lo_u32 v2, v1, 11
	v_add_u32_e32 v6, 3, v2
	v_add_u32_e32 v4, 1, v2
	global_load_ubyte v29, v2, s[24:25]
	global_load_ubyte v30, v4, s[24:25]
	v_add_u32_e32 v8, 4, v2
	v_add_u32_e32 v10, 5, v2
	;; [unrolled: 1-line block ×4, first 2 shown]
	global_load_ubyte v31, v6, s[24:25]
	global_load_ubyte v32, v8, s[24:25]
	;; [unrolled: 1-line block ×5, first 2 shown]
	v_add_u32_e32 v22, 2, v2
	global_load_ubyte v36, v22, s[24:25]
	v_add_u32_e32 v16, 8, v2
	v_add_u32_e32 v18, 9, v2
	;; [unrolled: 1-line block ×3, first 2 shown]
	global_load_ubyte v24, v16, s[24:25]
	global_load_ubyte v1, v18, s[24:25]
	;; [unrolled: 1-line block ×3, first 2 shown]
	v_and_b32_e32 v40, 64, v28
	v_cmp_lt_i32_e64 s[20:21], v39, v40
	v_mov_b32_e32 v3, 0
	v_lshrrev_b32_e32 v26, 6, v0
	v_or_b32_e32 v27, 63, v0
	v_and_b32_e32 v37, 15, v28
	v_and_b32_e32 v38, 16, v28
	v_cmp_lt_u32_e64 s[4:5], 31, v28
	v_cmp_eq_u32_e64 s[8:9], 0, v28
	v_and_b32_e32 v41, 3, v28
	v_cndmask_b32_e64 v28, v39, v28, s[20:21]
	v_mov_b32_e32 v5, v3
	v_mov_b32_e32 v23, v3
	;; [unrolled: 1-line block ×10, first 2 shown]
	v_cmp_gt_u32_e32 vcc, 4, v0
	v_cmp_lt_u32_e64 s[0:1], 63, v0
	v_cmp_eq_u32_e64 s[2:3], 0, v0
	v_cmp_eq_u32_e64 s[6:7], v27, v0
	v_add_u32_e32 v27, -1, v26
	v_cmp_eq_u32_e64 s[10:11], 0, v37
	v_cmp_lt_u32_e64 s[12:13], 1, v37
	v_cmp_lt_u32_e64 s[14:15], 3, v37
	;; [unrolled: 1-line block ×3, first 2 shown]
	v_cmp_eq_u32_e64 s[18:19], 0, v38
	v_cmp_eq_u32_e64 s[20:21], 0, v41
	v_cmp_lt_u32_e64 s[22:23], 1, v41
	v_lshlrev_b32_e32 v28, 2, v28
	s_movk_i32 s28, 0x64
	s_waitcnt vmcnt(9)
	v_lshlrev_b16_e32 v30, 8, v30
	s_waitcnt vmcnt(8)
	v_lshlrev_b16_e32 v31, 8, v31
	v_or_b32_e32 v29, v29, v30
	s_waitcnt vmcnt(6)
	v_lshlrev_b16_e32 v33, 8, v33
	s_waitcnt vmcnt(4)
	v_lshlrev_b16_e32 v35, 8, v35
	s_waitcnt vmcnt(3)
	v_or_b32_sdwa v30, v36, v31 dst_sel:WORD_1 dst_unused:UNUSED_PAD src0_sel:DWORD src1_sel:DWORD
	v_or_b32_e32 v31, v32, v33
	v_or_b32_sdwa v32, v34, v35 dst_sel:WORD_1 dst_unused:UNUSED_PAD src0_sel:DWORD src1_sel:DWORD
	v_or_b32_sdwa v29, v29, v30 dst_sel:DWORD dst_unused:UNUSED_PAD src0_sel:WORD_0 src1_sel:DWORD
	v_or_b32_sdwa v30, v31, v32 dst_sel:DWORD dst_unused:UNUSED_PAD src0_sel:WORD_0 src1_sel:DWORD
	s_branch .LBB100_2
.LBB100_1:                              ;   in Loop: Header=BB100_2 Depth=1
	s_or_b64 exec, exec, s[24:25]
	v_and_b32_e32 v33, 0xff, v33
	ds_bpermute_b32 v33, v28, v33
	s_add_i32 s28, s28, -1
	s_cmp_lg_u32 s28, 0
	s_waitcnt lgkmcnt(0)
	v_cndmask_b32_e64 v33, v33, v34, s[8:9]
	v_cndmask_b32_e64 v33, v33, 0, s[2:3]
	v_add_u16_e32 v34, v33, v29
	v_add_u16_e32 v33, v34, v32
	v_add_u16_sdwa v32, v33, v29 dst_sel:DWORD dst_unused:UNUSED_PAD src0_sel:DWORD src1_sel:WORD_1
	v_lshlrev_b16_e32 v36, 8, v33
	v_add_u16_sdwa v35, v32, v29 dst_sel:DWORD dst_unused:UNUSED_PAD src0_sel:DWORD src1_sel:BYTE_3
	v_or_b32_sdwa v29, v34, v36 dst_sel:DWORD dst_unused:UNUSED_PAD src0_sel:BYTE_0 src1_sel:DWORD
	v_add_u16_e32 v36, v35, v30
	v_lshlrev_b16_e32 v38, 8, v35
	v_add_u16_e32 v37, v36, v31
	v_or_b32_sdwa v39, v32, v38 dst_sel:WORD_1 dst_unused:UNUSED_PAD src0_sel:BYTE_0 src1_sel:DWORD
	v_add_u16_sdwa v38, v37, v30 dst_sel:DWORD dst_unused:UNUSED_PAD src0_sel:DWORD src1_sel:WORD_1
	v_add_u16_sdwa v31, v38, v30 dst_sel:DWORD dst_unused:UNUSED_PAD src0_sel:DWORD src1_sel:BYTE_3
	v_add_u16_e32 v24, v31, v24
	v_or_b32_sdwa v29, v29, v39 dst_sel:DWORD dst_unused:UNUSED_PAD src0_sel:WORD_0 src1_sel:DWORD
	v_lshlrev_b16_e32 v30, 8, v37
	v_lshlrev_b16_e32 v39, 8, v31
	v_add_u16_e32 v1, v24, v1
	v_or_b32_sdwa v30, v36, v30 dst_sel:DWORD dst_unused:UNUSED_PAD src0_sel:BYTE_0 src1_sel:DWORD
	v_or_b32_sdwa v39, v38, v39 dst_sel:WORD_1 dst_unused:UNUSED_PAD src0_sel:BYTE_0 src1_sel:DWORD
	v_add_u16_e32 v25, v1, v25
	v_or_b32_sdwa v30, v30, v39 dst_sel:DWORD dst_unused:UNUSED_PAD src0_sel:WORD_0 src1_sel:DWORD
	s_cbranch_scc0 .LBB100_8
.LBB100_2:                              ; =>This Inner Loop Header: Depth=1
	v_lshrrev_b32_e32 v32, 8, v29
	v_add_u16_e32 v33, v32, v29
	v_add_u16_sdwa v33, v33, v29 dst_sel:DWORD dst_unused:UNUSED_PAD src0_sel:DWORD src1_sel:WORD_1
	v_add_u16_sdwa v33, v33, v29 dst_sel:DWORD dst_unused:UNUSED_PAD src0_sel:DWORD src1_sel:BYTE_3
	v_lshrrev_b32_e32 v31, 8, v30
	v_add_u16_e32 v33, v33, v30
	v_add_u16_e32 v33, v33, v31
	v_add_u16_sdwa v33, v33, v30 dst_sel:DWORD dst_unused:UNUSED_PAD src0_sel:DWORD src1_sel:WORD_1
	v_add_u16_sdwa v33, v33, v30 dst_sel:DWORD dst_unused:UNUSED_PAD src0_sel:DWORD src1_sel:BYTE_3
	s_waitcnt vmcnt(2)
	v_add_u16_e32 v33, v33, v24
	s_waitcnt vmcnt(1)
	v_add_u16_e32 v33, v33, v1
	;; [unrolled: 2-line block ×3, first 2 shown]
	v_and_b32_e32 v34, 0xff, v33
	s_nop 1
	v_mov_b32_dpp v34, v34 row_shr:1 row_mask:0xf bank_mask:0xf
	v_cndmask_b32_e64 v34, v34, 0, s[10:11]
	v_add_u16_e32 v33, v33, v34
	v_and_b32_e32 v34, 0xff, v33
	s_nop 1
	v_mov_b32_dpp v34, v34 row_shr:2 row_mask:0xf bank_mask:0xf
	v_cndmask_b32_e64 v34, 0, v34, s[12:13]
	v_add_u16_e32 v33, v33, v34
	v_and_b32_e32 v34, 0xff, v33
	s_nop 1
	v_mov_b32_dpp v34, v34 row_shr:4 row_mask:0xf bank_mask:0xf
	v_cndmask_b32_e64 v34, 0, v34, s[14:15]
	v_add_u16_e32 v33, v33, v34
	v_and_b32_e32 v34, 0xff, v33
	s_nop 1
	v_mov_b32_dpp v34, v34 row_shr:8 row_mask:0xf bank_mask:0xf
	v_cndmask_b32_e64 v34, 0, v34, s[16:17]
	v_add_u16_e32 v33, v33, v34
	v_and_b32_e32 v34, 0xff, v33
	s_nop 1
	v_mov_b32_dpp v34, v34 row_bcast:15 row_mask:0xf bank_mask:0xf
	v_cndmask_b32_e64 v34, v34, 0, s[18:19]
	v_add_u16_e32 v33, v33, v34
	v_and_b32_e32 v34, 0xff, v33
	s_nop 1
	v_mov_b32_dpp v34, v34 row_bcast:31 row_mask:0xf bank_mask:0xf
	v_cndmask_b32_e64 v34, 0, v34, s[4:5]
	v_add_u16_e32 v33, v33, v34
	s_and_saveexec_b64 s[24:25], s[6:7]
	s_cbranch_execz .LBB100_4
; %bb.3:                                ;   in Loop: Header=BB100_2 Depth=1
	ds_write_b8 v26, v33
.LBB100_4:                              ;   in Loop: Header=BB100_2 Depth=1
	s_or_b64 exec, exec, s[24:25]
	s_waitcnt lgkmcnt(0)
	s_barrier
	s_and_saveexec_b64 s[24:25], vcc
	s_cbranch_execz .LBB100_6
; %bb.5:                                ;   in Loop: Header=BB100_2 Depth=1
	ds_read_u8 v34, v0
	s_waitcnt lgkmcnt(0)
	v_and_b32_e32 v35, 0xff, v34
	s_nop 1
	v_mov_b32_dpp v35, v35 row_shr:1 row_mask:0xf bank_mask:0xf
	v_cndmask_b32_e64 v35, v35, 0, s[20:21]
	v_add_u16_e32 v34, v35, v34
	v_and_b32_e32 v35, 0xff, v34
	s_nop 1
	v_mov_b32_dpp v35, v35 row_shr:2 row_mask:0xf bank_mask:0xf
	v_cndmask_b32_e64 v35, 0, v35, s[22:23]
	v_add_u16_e32 v34, v34, v35
	ds_write_b8 v0, v34
.LBB100_6:                              ;   in Loop: Header=BB100_2 Depth=1
	s_or_b64 exec, exec, s[24:25]
	s_waitcnt lgkmcnt(0)
	s_barrier
	s_waitcnt lgkmcnt(0)
                                        ; implicit-def: $vgpr34
	s_and_saveexec_b64 s[24:25], s[0:1]
	s_cbranch_execz .LBB100_1
; %bb.7:                                ;   in Loop: Header=BB100_2 Depth=1
	ds_read_u8 v34, v27
	s_waitcnt lgkmcnt(0)
	v_add_u16_e32 v33, v34, v33
	s_branch .LBB100_1
.LBB100_8:
	v_lshl_add_u64 v[2:3], s[26:27], 0, v[2:3]
	global_store_byte v[2:3], v34, off
	v_lshl_add_u64 v[2:3], s[26:27], 0, v[4:5]
	global_store_byte v[2:3], v33, off
	;; [unrolled: 2-line block ×11, first 2 shown]
	s_endpgm
	.section	.rodata,"a",@progbits
	.p2align	6, 0x0
	.amdhsa_kernel _Z6kernelI14inclusive_scanILN6hipcub18BlockScanAlgorithmE0EEhLj256ELj11ELj100EEvPKT0_PS4_S4_
		.amdhsa_group_segment_fixed_size 4
		.amdhsa_private_segment_fixed_size 0
		.amdhsa_kernarg_size 280
		.amdhsa_user_sgpr_count 2
		.amdhsa_user_sgpr_dispatch_ptr 0
		.amdhsa_user_sgpr_queue_ptr 0
		.amdhsa_user_sgpr_kernarg_segment_ptr 1
		.amdhsa_user_sgpr_dispatch_id 0
		.amdhsa_user_sgpr_kernarg_preload_length 0
		.amdhsa_user_sgpr_kernarg_preload_offset 0
		.amdhsa_user_sgpr_private_segment_size 0
		.amdhsa_uses_dynamic_stack 0
		.amdhsa_enable_private_segment 0
		.amdhsa_system_sgpr_workgroup_id_x 1
		.amdhsa_system_sgpr_workgroup_id_y 0
		.amdhsa_system_sgpr_workgroup_id_z 0
		.amdhsa_system_sgpr_workgroup_info 0
		.amdhsa_system_vgpr_workitem_id 0
		.amdhsa_next_free_vgpr 42
		.amdhsa_next_free_sgpr 29
		.amdhsa_accum_offset 44
		.amdhsa_reserve_vcc 1
		.amdhsa_float_round_mode_32 0
		.amdhsa_float_round_mode_16_64 0
		.amdhsa_float_denorm_mode_32 3
		.amdhsa_float_denorm_mode_16_64 3
		.amdhsa_dx10_clamp 1
		.amdhsa_ieee_mode 1
		.amdhsa_fp16_overflow 0
		.amdhsa_tg_split 0
		.amdhsa_exception_fp_ieee_invalid_op 0
		.amdhsa_exception_fp_denorm_src 0
		.amdhsa_exception_fp_ieee_div_zero 0
		.amdhsa_exception_fp_ieee_overflow 0
		.amdhsa_exception_fp_ieee_underflow 0
		.amdhsa_exception_fp_ieee_inexact 0
		.amdhsa_exception_int_div_zero 0
	.end_amdhsa_kernel
	.section	.text._Z6kernelI14inclusive_scanILN6hipcub18BlockScanAlgorithmE0EEhLj256ELj11ELj100EEvPKT0_PS4_S4_,"axG",@progbits,_Z6kernelI14inclusive_scanILN6hipcub18BlockScanAlgorithmE0EEhLj256ELj11ELj100EEvPKT0_PS4_S4_,comdat
.Lfunc_end100:
	.size	_Z6kernelI14inclusive_scanILN6hipcub18BlockScanAlgorithmE0EEhLj256ELj11ELj100EEvPKT0_PS4_S4_, .Lfunc_end100-_Z6kernelI14inclusive_scanILN6hipcub18BlockScanAlgorithmE0EEhLj256ELj11ELj100EEvPKT0_PS4_S4_
                                        ; -- End function
	.section	.AMDGPU.csdata,"",@progbits
; Kernel info:
; codeLenInByte = 1256
; NumSgprs: 35
; NumVgprs: 42
; NumAgprs: 0
; TotalNumVgprs: 42
; ScratchSize: 0
; MemoryBound: 0
; FloatMode: 240
; IeeeMode: 1
; LDSByteSize: 4 bytes/workgroup (compile time only)
; SGPRBlocks: 4
; VGPRBlocks: 5
; NumSGPRsForWavesPerEU: 35
; NumVGPRsForWavesPerEU: 42
; AccumOffset: 44
; Occupancy: 8
; WaveLimiterHint : 0
; COMPUTE_PGM_RSRC2:SCRATCH_EN: 0
; COMPUTE_PGM_RSRC2:USER_SGPR: 2
; COMPUTE_PGM_RSRC2:TRAP_HANDLER: 0
; COMPUTE_PGM_RSRC2:TGID_X_EN: 1
; COMPUTE_PGM_RSRC2:TGID_Y_EN: 0
; COMPUTE_PGM_RSRC2:TGID_Z_EN: 0
; COMPUTE_PGM_RSRC2:TIDIG_COMP_CNT: 0
; COMPUTE_PGM_RSRC3_GFX90A:ACCUM_OFFSET: 10
; COMPUTE_PGM_RSRC3_GFX90A:TG_SPLIT: 0
	.section	.text._Z6kernelI14inclusive_scanILN6hipcub18BlockScanAlgorithmE0EEhLj256ELj16ELj100EEvPKT0_PS4_S4_,"axG",@progbits,_Z6kernelI14inclusive_scanILN6hipcub18BlockScanAlgorithmE0EEhLj256ELj16ELj100EEvPKT0_PS4_S4_,comdat
	.protected	_Z6kernelI14inclusive_scanILN6hipcub18BlockScanAlgorithmE0EEhLj256ELj16ELj100EEvPKT0_PS4_S4_ ; -- Begin function _Z6kernelI14inclusive_scanILN6hipcub18BlockScanAlgorithmE0EEhLj256ELj16ELj100EEvPKT0_PS4_S4_
	.globl	_Z6kernelI14inclusive_scanILN6hipcub18BlockScanAlgorithmE0EEhLj256ELj16ELj100EEvPKT0_PS4_S4_
	.p2align	8
	.type	_Z6kernelI14inclusive_scanILN6hipcub18BlockScanAlgorithmE0EEhLj256ELj16ELj100EEvPKT0_PS4_S4_,@function
_Z6kernelI14inclusive_scanILN6hipcub18BlockScanAlgorithmE0EEhLj256ELj16ELj100EEvPKT0_PS4_S4_: ; @_Z6kernelI14inclusive_scanILN6hipcub18BlockScanAlgorithmE0EEhLj256ELj16ELj100EEvPKT0_PS4_S4_
; %bb.0:
	s_load_dword s3, s[0:1], 0x24
	s_load_dwordx4 s[24:27], s[0:1], 0x0
	v_mbcnt_lo_u32_b32 v1, -1, 0
	v_mbcnt_hi_u32_b32 v9, -1, v1
	v_or_b32_e32 v8, 63, v0
	s_waitcnt lgkmcnt(0)
	s_and_b32 s0, s3, 0xffff
	s_mul_i32 s2, s2, s0
	v_add_lshl_u32 v6, s2, v0, 4
	global_load_dwordx4 v[2:5], v6, s[24:25]
	v_and_b32_e32 v1, 15, v9
	v_cmp_eq_u32_e64 s[10:11], v8, v0
	v_add_u32_e32 v8, -1, v9
	v_and_b32_e32 v10, 64, v9
	v_cmp_eq_u32_e32 vcc, 0, v1
	v_cmp_lt_u32_e64 s[0:1], 1, v1
	v_cmp_lt_u32_e64 s[2:3], 3, v1
	;; [unrolled: 1-line block ×3, first 2 shown]
	v_and_b32_e32 v1, 16, v9
	v_cmp_lt_i32_e64 s[16:17], v8, v10
	v_cmp_eq_u32_e64 s[6:7], 0, v1
	v_cmp_lt_u32_e64 s[8:9], 31, v9
	v_lshrrev_b32_e32 v1, 6, v0
	v_cndmask_b32_e64 v8, v8, v9, s[16:17]
	v_cmp_eq_u32_e64 s[18:19], 0, v9
	v_and_b32_e32 v9, 3, v9
	v_mov_b32_e32 v7, 0
	v_cmp_gt_u32_e64 s[12:13], 4, v0
	v_cmp_lt_u32_e64 s[14:15], 63, v0
	v_lshlrev_b32_e32 v8, 2, v8
	v_cmp_eq_u32_e64 s[16:17], 0, v0
	v_cmp_eq_u32_e64 s[20:21], 0, v9
	v_cmp_lt_u32_e64 s[22:23], 1, v9
	v_add_u32_e32 v9, -1, v1
	s_movk_i32 s28, 0x64
	s_branch .LBB101_2
.LBB101_1:                              ;   in Loop: Header=BB101_2 Depth=1
	s_or_b64 exec, exec, s[24:25]
	v_and_b32_e32 v14, 0xff, v14
	ds_bpermute_b32 v14, v8, v14
	s_add_i32 s28, s28, -1
	s_cmp_lg_u32 s28, 0
	s_waitcnt lgkmcnt(0)
	v_cndmask_b32_e64 v14, v14, v15, s[18:19]
	v_cndmask_b32_e64 v14, v14, 0, s[16:17]
	v_add_u16_e32 v14, v14, v2
	v_add_u16_e32 v13, v14, v13
	v_add_u16_sdwa v15, v13, v2 dst_sel:DWORD dst_unused:UNUSED_PAD src0_sel:DWORD src1_sel:WORD_1
	v_lshlrev_b16_e32 v13, 8, v13
	v_add_u16_sdwa v2, v15, v2 dst_sel:DWORD dst_unused:UNUSED_PAD src0_sel:DWORD src1_sel:BYTE_3
	v_or_b32_sdwa v13, v14, v13 dst_sel:DWORD dst_unused:UNUSED_PAD src0_sel:BYTE_0 src1_sel:DWORD
	v_add_u16_e32 v14, v2, v3
	v_lshlrev_b16_e32 v2, 8, v2
	v_add_u16_e32 v16, v14, v11
	v_or_b32_sdwa v11, v15, v2 dst_sel:WORD_1 dst_unused:UNUSED_PAD src0_sel:BYTE_0 src1_sel:DWORD
	v_add_u16_sdwa v15, v16, v3 dst_sel:DWORD dst_unused:UNUSED_PAD src0_sel:DWORD src1_sel:WORD_1
	v_add_u16_sdwa v3, v15, v3 dst_sel:DWORD dst_unused:UNUSED_PAD src0_sel:DWORD src1_sel:BYTE_3
	v_add_u16_e32 v17, v3, v4
	v_add_u16_e32 v18, v17, v12
	v_add_u16_sdwa v19, v18, v4 dst_sel:DWORD dst_unused:UNUSED_PAD src0_sel:DWORD src1_sel:WORD_1
	v_add_u16_sdwa v4, v19, v4 dst_sel:DWORD dst_unused:UNUSED_PAD src0_sel:DWORD src1_sel:BYTE_3
	v_add_u16_e32 v20, v4, v5
	v_add_u16_e32 v21, v20, v10
	v_add_u16_sdwa v22, v21, v5 dst_sel:DWORD dst_unused:UNUSED_PAD src0_sel:DWORD src1_sel:WORD_1
	v_add_u16_sdwa v5, v22, v5 dst_sel:DWORD dst_unused:UNUSED_PAD src0_sel:DWORD src1_sel:BYTE_3
	v_lshlrev_b16_e32 v10, 8, v16
	v_or_b32_sdwa v10, v14, v10 dst_sel:DWORD dst_unused:UNUSED_PAD src0_sel:BYTE_0 src1_sel:DWORD
	v_lshlrev_b16_e32 v3, 8, v3
	v_lshlrev_b16_e32 v14, 8, v18
	;; [unrolled: 1-line block ×5, first 2 shown]
	v_or_b32_sdwa v12, v15, v3 dst_sel:WORD_1 dst_unused:UNUSED_PAD src0_sel:BYTE_0 src1_sel:DWORD
	v_or_b32_sdwa v14, v17, v14 dst_sel:DWORD dst_unused:UNUSED_PAD src0_sel:BYTE_0 src1_sel:DWORD
	v_or_b32_sdwa v15, v19, v4 dst_sel:WORD_1 dst_unused:UNUSED_PAD src0_sel:BYTE_0 src1_sel:DWORD
	v_or_b32_sdwa v16, v20, v16 dst_sel:DWORD dst_unused:UNUSED_PAD src0_sel:BYTE_0 src1_sel:DWORD
	v_or_b32_sdwa v17, v22, v5 dst_sel:WORD_1 dst_unused:UNUSED_PAD src0_sel:BYTE_0 src1_sel:DWORD
	v_or_b32_sdwa v2, v13, v11 dst_sel:DWORD dst_unused:UNUSED_PAD src0_sel:WORD_0 src1_sel:DWORD
	v_or_b32_sdwa v3, v10, v12 dst_sel:DWORD dst_unused:UNUSED_PAD src0_sel:WORD_0 src1_sel:DWORD
	;; [unrolled: 1-line block ×4, first 2 shown]
	s_cbranch_scc0 .LBB101_8
.LBB101_2:                              ; =>This Inner Loop Header: Depth=1
	s_waitcnt vmcnt(0)
	v_lshrrev_b32_e32 v13, 8, v2
	v_add_u16_e32 v12, v13, v2
	v_add_u16_sdwa v12, v12, v2 dst_sel:DWORD dst_unused:UNUSED_PAD src0_sel:DWORD src1_sel:WORD_1
	v_add_u16_sdwa v12, v12, v2 dst_sel:DWORD dst_unused:UNUSED_PAD src0_sel:DWORD src1_sel:BYTE_3
	v_lshrrev_b32_e32 v11, 8, v3
	v_add_u16_e32 v12, v12, v3
	v_add_u16_e32 v12, v12, v11
	v_add_u16_sdwa v12, v12, v3 dst_sel:DWORD dst_unused:UNUSED_PAD src0_sel:DWORD src1_sel:WORD_1
	v_add_u16_sdwa v12, v12, v3 dst_sel:DWORD dst_unused:UNUSED_PAD src0_sel:DWORD src1_sel:BYTE_3
	v_add_u16_e32 v14, v12, v4
	v_lshrrev_b32_e32 v12, 8, v4
	v_add_u16_e32 v14, v14, v12
	v_add_u16_sdwa v14, v14, v4 dst_sel:DWORD dst_unused:UNUSED_PAD src0_sel:DWORD src1_sel:WORD_1
	v_add_u16_sdwa v14, v14, v4 dst_sel:DWORD dst_unused:UNUSED_PAD src0_sel:DWORD src1_sel:BYTE_3
	v_lshrrev_b32_e32 v10, 8, v5
	v_add_u16_e32 v14, v14, v5
	v_add_u16_e32 v14, v14, v10
	v_add_u16_sdwa v14, v14, v5 dst_sel:DWORD dst_unused:UNUSED_PAD src0_sel:DWORD src1_sel:WORD_1
	v_add_u16_sdwa v14, v14, v5 dst_sel:DWORD dst_unused:UNUSED_PAD src0_sel:DWORD src1_sel:BYTE_3
	v_and_b32_e32 v15, 0xff, v14
	s_nop 1
	v_mov_b32_dpp v15, v15 row_shr:1 row_mask:0xf bank_mask:0xf
	v_cndmask_b32_e64 v15, v15, 0, vcc
	v_add_u16_e32 v14, v14, v15
	v_and_b32_e32 v15, 0xff, v14
	s_nop 1
	v_mov_b32_dpp v15, v15 row_shr:2 row_mask:0xf bank_mask:0xf
	v_cndmask_b32_e64 v15, 0, v15, s[0:1]
	v_add_u16_e32 v14, v14, v15
	v_and_b32_e32 v15, 0xff, v14
	s_nop 1
	v_mov_b32_dpp v15, v15 row_shr:4 row_mask:0xf bank_mask:0xf
	v_cndmask_b32_e64 v15, 0, v15, s[2:3]
	;; [unrolled: 5-line block ×3, first 2 shown]
	v_add_u16_e32 v14, v14, v15
	v_and_b32_e32 v15, 0xff, v14
	s_nop 1
	v_mov_b32_dpp v15, v15 row_bcast:15 row_mask:0xf bank_mask:0xf
	v_cndmask_b32_e64 v15, v15, 0, s[6:7]
	v_add_u16_e32 v14, v14, v15
	v_and_b32_e32 v15, 0xff, v14
	s_nop 1
	v_mov_b32_dpp v15, v15 row_bcast:31 row_mask:0xf bank_mask:0xf
	v_cndmask_b32_e64 v15, 0, v15, s[8:9]
	v_add_u16_e32 v14, v14, v15
	s_and_saveexec_b64 s[24:25], s[10:11]
	s_cbranch_execz .LBB101_4
; %bb.3:                                ;   in Loop: Header=BB101_2 Depth=1
	ds_write_b8 v1, v14
.LBB101_4:                              ;   in Loop: Header=BB101_2 Depth=1
	s_or_b64 exec, exec, s[24:25]
	s_waitcnt lgkmcnt(0)
	s_barrier
	s_and_saveexec_b64 s[24:25], s[12:13]
	s_cbranch_execz .LBB101_6
; %bb.5:                                ;   in Loop: Header=BB101_2 Depth=1
	ds_read_u8 v15, v0
	s_waitcnt lgkmcnt(0)
	v_and_b32_e32 v16, 0xff, v15
	s_nop 1
	v_mov_b32_dpp v16, v16 row_shr:1 row_mask:0xf bank_mask:0xf
	v_cndmask_b32_e64 v16, v16, 0, s[20:21]
	v_add_u16_e32 v15, v16, v15
	v_and_b32_e32 v16, 0xff, v15
	s_nop 1
	v_mov_b32_dpp v16, v16 row_shr:2 row_mask:0xf bank_mask:0xf
	v_cndmask_b32_e64 v16, 0, v16, s[22:23]
	v_add_u16_e32 v15, v15, v16
	ds_write_b8 v0, v15
.LBB101_6:                              ;   in Loop: Header=BB101_2 Depth=1
	s_or_b64 exec, exec, s[24:25]
	s_waitcnt lgkmcnt(0)
	s_barrier
	s_waitcnt lgkmcnt(0)
                                        ; implicit-def: $vgpr15
	s_and_saveexec_b64 s[24:25], s[14:15]
	s_cbranch_execz .LBB101_1
; %bb.7:                                ;   in Loop: Header=BB101_2 Depth=1
	ds_read_u8 v15, v9
	s_waitcnt lgkmcnt(0)
	v_add_u16_e32 v14, v15, v14
	s_branch .LBB101_1
.LBB101_8:
	v_lshl_add_u64 v[4:5], s[26:27], 0, v[6:7]
	v_or_b32_sdwa v3, v16, v17 dst_sel:DWORD dst_unused:UNUSED_PAD src0_sel:WORD_0 src1_sel:DWORD
	v_or_b32_sdwa v2, v14, v15 dst_sel:DWORD dst_unused:UNUSED_PAD src0_sel:WORD_0 src1_sel:DWORD
	;; [unrolled: 1-line block ×4, first 2 shown]
	global_store_dwordx4 v[4:5], v[0:3], off
	s_endpgm
	.section	.rodata,"a",@progbits
	.p2align	6, 0x0
	.amdhsa_kernel _Z6kernelI14inclusive_scanILN6hipcub18BlockScanAlgorithmE0EEhLj256ELj16ELj100EEvPKT0_PS4_S4_
		.amdhsa_group_segment_fixed_size 4
		.amdhsa_private_segment_fixed_size 0
		.amdhsa_kernarg_size 280
		.amdhsa_user_sgpr_count 2
		.amdhsa_user_sgpr_dispatch_ptr 0
		.amdhsa_user_sgpr_queue_ptr 0
		.amdhsa_user_sgpr_kernarg_segment_ptr 1
		.amdhsa_user_sgpr_dispatch_id 0
		.amdhsa_user_sgpr_kernarg_preload_length 0
		.amdhsa_user_sgpr_kernarg_preload_offset 0
		.amdhsa_user_sgpr_private_segment_size 0
		.amdhsa_uses_dynamic_stack 0
		.amdhsa_enable_private_segment 0
		.amdhsa_system_sgpr_workgroup_id_x 1
		.amdhsa_system_sgpr_workgroup_id_y 0
		.amdhsa_system_sgpr_workgroup_id_z 0
		.amdhsa_system_sgpr_workgroup_info 0
		.amdhsa_system_vgpr_workitem_id 0
		.amdhsa_next_free_vgpr 23
		.amdhsa_next_free_sgpr 29
		.amdhsa_accum_offset 24
		.amdhsa_reserve_vcc 1
		.amdhsa_float_round_mode_32 0
		.amdhsa_float_round_mode_16_64 0
		.amdhsa_float_denorm_mode_32 3
		.amdhsa_float_denorm_mode_16_64 3
		.amdhsa_dx10_clamp 1
		.amdhsa_ieee_mode 1
		.amdhsa_fp16_overflow 0
		.amdhsa_tg_split 0
		.amdhsa_exception_fp_ieee_invalid_op 0
		.amdhsa_exception_fp_denorm_src 0
		.amdhsa_exception_fp_ieee_div_zero 0
		.amdhsa_exception_fp_ieee_overflow 0
		.amdhsa_exception_fp_ieee_underflow 0
		.amdhsa_exception_fp_ieee_inexact 0
		.amdhsa_exception_int_div_zero 0
	.end_amdhsa_kernel
	.section	.text._Z6kernelI14inclusive_scanILN6hipcub18BlockScanAlgorithmE0EEhLj256ELj16ELj100EEvPKT0_PS4_S4_,"axG",@progbits,_Z6kernelI14inclusive_scanILN6hipcub18BlockScanAlgorithmE0EEhLj256ELj16ELj100EEvPKT0_PS4_S4_,comdat
.Lfunc_end101:
	.size	_Z6kernelI14inclusive_scanILN6hipcub18BlockScanAlgorithmE0EEhLj256ELj16ELj100EEvPKT0_PS4_S4_, .Lfunc_end101-_Z6kernelI14inclusive_scanILN6hipcub18BlockScanAlgorithmE0EEhLj256ELj16ELj100EEvPKT0_PS4_S4_
                                        ; -- End function
	.section	.AMDGPU.csdata,"",@progbits
; Kernel info:
; codeLenInByte = 1024
; NumSgprs: 35
; NumVgprs: 23
; NumAgprs: 0
; TotalNumVgprs: 23
; ScratchSize: 0
; MemoryBound: 0
; FloatMode: 240
; IeeeMode: 1
; LDSByteSize: 4 bytes/workgroup (compile time only)
; SGPRBlocks: 4
; VGPRBlocks: 2
; NumSGPRsForWavesPerEU: 35
; NumVGPRsForWavesPerEU: 23
; AccumOffset: 24
; Occupancy: 8
; WaveLimiterHint : 0
; COMPUTE_PGM_RSRC2:SCRATCH_EN: 0
; COMPUTE_PGM_RSRC2:USER_SGPR: 2
; COMPUTE_PGM_RSRC2:TRAP_HANDLER: 0
; COMPUTE_PGM_RSRC2:TGID_X_EN: 1
; COMPUTE_PGM_RSRC2:TGID_Y_EN: 0
; COMPUTE_PGM_RSRC2:TGID_Z_EN: 0
; COMPUTE_PGM_RSRC2:TIDIG_COMP_CNT: 0
; COMPUTE_PGM_RSRC3_GFX90A:ACCUM_OFFSET: 5
; COMPUTE_PGM_RSRC3_GFX90A:TG_SPLIT: 0
	.section	.text._Z6kernelI14inclusive_scanILN6hipcub18BlockScanAlgorithmE0EEN15benchmark_utils11custom_typeIffEELj256ELj1ELj100EEvPKT0_PS7_S7_,"axG",@progbits,_Z6kernelI14inclusive_scanILN6hipcub18BlockScanAlgorithmE0EEN15benchmark_utils11custom_typeIffEELj256ELj1ELj100EEvPKT0_PS7_S7_,comdat
	.protected	_Z6kernelI14inclusive_scanILN6hipcub18BlockScanAlgorithmE0EEN15benchmark_utils11custom_typeIffEELj256ELj1ELj100EEvPKT0_PS7_S7_ ; -- Begin function _Z6kernelI14inclusive_scanILN6hipcub18BlockScanAlgorithmE0EEN15benchmark_utils11custom_typeIffEELj256ELj1ELj100EEvPKT0_PS7_S7_
	.globl	_Z6kernelI14inclusive_scanILN6hipcub18BlockScanAlgorithmE0EEN15benchmark_utils11custom_typeIffEELj256ELj1ELj100EEvPKT0_PS7_S7_
	.p2align	8
	.type	_Z6kernelI14inclusive_scanILN6hipcub18BlockScanAlgorithmE0EEN15benchmark_utils11custom_typeIffEELj256ELj1ELj100EEvPKT0_PS7_S7_,@function
_Z6kernelI14inclusive_scanILN6hipcub18BlockScanAlgorithmE0EEN15benchmark_utils11custom_typeIffEELj256ELj1ELj100EEvPKT0_PS7_S7_: ; @_Z6kernelI14inclusive_scanILN6hipcub18BlockScanAlgorithmE0EEN15benchmark_utils11custom_typeIffEELj256ELj1ELj100EEvPKT0_PS7_S7_
; %bb.0:
	s_load_dwordx4 s[20:23], s[0:1], 0x0
	s_load_dword s3, s[0:1], 0x24
	v_mov_b32_e32 v3, 0
	v_mbcnt_lo_u32_b32 v1, -1, 0
	v_mbcnt_hi_u32_b32 v1, -1, v1
	s_waitcnt lgkmcnt(0)
	v_mov_b32_e32 v4, s20
	s_and_b32 s0, s3, 0xffff
	s_mul_i32 s2, s2, s0
	v_mov_b32_e32 v5, s21
	v_add_u32_e32 v2, s2, v0
	v_lshl_add_u64 v[4:5], v[2:3], 3, v[4:5]
	global_load_dwordx2 v[4:5], v[4:5], off
	v_and_b32_e32 v6, 15, v1
	v_cmp_eq_u32_e32 vcc, 0, v6
	v_cmp_lt_u32_e64 s[0:1], 1, v6
	v_cmp_lt_u32_e64 s[2:3], 3, v6
	;; [unrolled: 1-line block ×3, first 2 shown]
	v_and_b32_e32 v6, 16, v1
	v_cmp_eq_u32_e64 s[6:7], 0, v6
	v_or_b32_e32 v6, 63, v0
	v_cmp_eq_u32_e64 s[10:11], v6, v0
	v_lshrrev_b32_e32 v6, 3, v0
	v_cmp_gt_u32_e64 s[12:13], 4, v0
	v_cmp_lt_u32_e64 s[14:15], 63, v0
	v_and_b32_e32 v6, 24, v6
	v_lshlrev_b32_e32 v7, 3, v0
	v_and_b32_e32 v0, 3, v1
	v_cmp_lt_u32_e64 s[8:9], 31, v1
	v_cmp_eq_u32_e64 s[16:17], 0, v0
	v_cmp_lt_u32_e64 s[18:19], 1, v0
	v_add_u32_e32 v8, -8, v6
	s_movk_i32 s24, 0x64
	s_branch .LBB102_2
.LBB102_1:                              ;   in Loop: Header=BB102_2 Depth=1
	s_or_b64 exec, exec, s[20:21]
	s_add_i32 s24, s24, -1
	s_cmp_lg_u32 s24, 0
	s_cbranch_scc0 .LBB102_8
.LBB102_2:                              ; =>This Inner Loop Header: Depth=1
	s_waitcnt vmcnt(0)
	v_mov_b32_dpp v0, v4 row_shr:1 row_mask:0xf bank_mask:0xf
	v_mov_b32_dpp v1, v5 row_shr:1 row_mask:0xf bank_mask:0xf
	v_pk_add_f32 v[0:1], v[4:5], v[0:1]
	s_nop 0
	v_cndmask_b32_e32 v1, v1, v5, vcc
	v_cndmask_b32_e32 v0, v0, v4, vcc
	s_nop 0
	v_mov_b32_dpp v5, v1 row_shr:2 row_mask:0xf bank_mask:0xf
	v_mov_b32_dpp v4, v0 row_shr:2 row_mask:0xf bank_mask:0xf
	v_pk_add_f32 v[4:5], v[0:1], v[4:5]
	s_nop 0
	v_cndmask_b32_e64 v1, v1, v5, s[0:1]
	v_cndmask_b32_e64 v0, v0, v4, s[0:1]
	s_nop 0
	v_mov_b32_dpp v5, v1 row_shr:4 row_mask:0xf bank_mask:0xf
	v_mov_b32_dpp v4, v0 row_shr:4 row_mask:0xf bank_mask:0xf
	v_pk_add_f32 v[4:5], v[0:1], v[4:5]
	s_nop 0
	v_cndmask_b32_e64 v1, v1, v5, s[2:3]
	v_cndmask_b32_e64 v0, v0, v4, s[2:3]
	;; [unrolled: 7-line block ×3, first 2 shown]
	s_nop 0
	v_mov_b32_dpp v5, v1 row_bcast:15 row_mask:0xf bank_mask:0xf
	v_mov_b32_dpp v4, v0 row_bcast:15 row_mask:0xf bank_mask:0xf
	v_pk_add_f32 v[4:5], v[0:1], v[4:5]
	s_nop 0
	v_cndmask_b32_e64 v1, v5, v1, s[6:7]
	v_cndmask_b32_e64 v0, v4, v0, s[6:7]
	s_nop 0
	v_mov_b32_dpp v5, v1 row_bcast:31 row_mask:0xf bank_mask:0xf
	v_mov_b32_dpp v4, v0 row_bcast:31 row_mask:0xf bank_mask:0xf
	v_pk_add_f32 v[4:5], v[0:1], v[4:5]
	s_and_saveexec_b64 s[20:21], s[10:11]
	s_cbranch_execz .LBB102_4
; %bb.3:                                ;   in Loop: Header=BB102_2 Depth=1
	v_cndmask_b32_e64 v11, v1, v5, s[8:9]
	v_cndmask_b32_e64 v10, v0, v4, s[8:9]
	ds_write_b64 v6, v[10:11]
.LBB102_4:                              ;   in Loop: Header=BB102_2 Depth=1
	s_or_b64 exec, exec, s[20:21]
	s_waitcnt lgkmcnt(0)
	s_barrier
	s_and_saveexec_b64 s[20:21], s[12:13]
	s_cbranch_execz .LBB102_6
; %bb.5:                                ;   in Loop: Header=BB102_2 Depth=1
	ds_read_b64 v[10:11], v7
	s_waitcnt lgkmcnt(0)
	s_nop 0
	v_mov_b32_dpp v12, v10 row_shr:1 row_mask:0xf bank_mask:0xf
	v_mov_b32_dpp v13, v11 row_shr:1 row_mask:0xf bank_mask:0xf
	v_pk_add_f32 v[12:13], v[10:11], v[12:13]
	s_nop 0
	v_cndmask_b32_e64 v11, v13, v11, s[16:17]
	v_cndmask_b32_e64 v10, v12, v10, s[16:17]
	s_nop 0
	v_mov_b32_dpp v13, v11 row_shr:2 row_mask:0xf bank_mask:0xf
	v_mov_b32_dpp v12, v10 row_shr:2 row_mask:0xf bank_mask:0xf
	v_pk_add_f32 v[12:13], v[10:11], v[12:13]
	s_nop 0
	v_cndmask_b32_e64 v11, v11, v13, s[18:19]
	v_cndmask_b32_e64 v10, v10, v12, s[18:19]
	ds_write_b64 v7, v[10:11]
.LBB102_6:                              ;   in Loop: Header=BB102_2 Depth=1
	s_or_b64 exec, exec, s[20:21]
	v_cndmask_b32_e64 v5, v1, v5, s[8:9]
	v_cndmask_b32_e64 v4, v0, v4, s[8:9]
	s_waitcnt lgkmcnt(0)
	s_barrier
	s_and_saveexec_b64 s[20:21], s[14:15]
	s_cbranch_execz .LBB102_1
; %bb.7:                                ;   in Loop: Header=BB102_2 Depth=1
	ds_read_b64 v[0:1], v8
	s_waitcnt lgkmcnt(0)
	v_pk_add_f32 v[4:5], v[4:5], v[0:1]
	s_branch .LBB102_1
.LBB102_8:
	v_mov_b32_e32 v0, s22
	v_mov_b32_e32 v1, s23
	v_lshl_add_u64 v[0:1], v[2:3], 3, v[0:1]
	global_store_dwordx2 v[0:1], v[4:5], off
	s_endpgm
	.section	.rodata,"a",@progbits
	.p2align	6, 0x0
	.amdhsa_kernel _Z6kernelI14inclusive_scanILN6hipcub18BlockScanAlgorithmE0EEN15benchmark_utils11custom_typeIffEELj256ELj1ELj100EEvPKT0_PS7_S7_
		.amdhsa_group_segment_fixed_size 32
		.amdhsa_private_segment_fixed_size 0
		.amdhsa_kernarg_size 280
		.amdhsa_user_sgpr_count 2
		.amdhsa_user_sgpr_dispatch_ptr 0
		.amdhsa_user_sgpr_queue_ptr 0
		.amdhsa_user_sgpr_kernarg_segment_ptr 1
		.amdhsa_user_sgpr_dispatch_id 0
		.amdhsa_user_sgpr_kernarg_preload_length 0
		.amdhsa_user_sgpr_kernarg_preload_offset 0
		.amdhsa_user_sgpr_private_segment_size 0
		.amdhsa_uses_dynamic_stack 0
		.amdhsa_enable_private_segment 0
		.amdhsa_system_sgpr_workgroup_id_x 1
		.amdhsa_system_sgpr_workgroup_id_y 0
		.amdhsa_system_sgpr_workgroup_id_z 0
		.amdhsa_system_sgpr_workgroup_info 0
		.amdhsa_system_vgpr_workitem_id 0
		.amdhsa_next_free_vgpr 14
		.amdhsa_next_free_sgpr 25
		.amdhsa_accum_offset 16
		.amdhsa_reserve_vcc 1
		.amdhsa_float_round_mode_32 0
		.amdhsa_float_round_mode_16_64 0
		.amdhsa_float_denorm_mode_32 3
		.amdhsa_float_denorm_mode_16_64 3
		.amdhsa_dx10_clamp 1
		.amdhsa_ieee_mode 1
		.amdhsa_fp16_overflow 0
		.amdhsa_tg_split 0
		.amdhsa_exception_fp_ieee_invalid_op 0
		.amdhsa_exception_fp_denorm_src 0
		.amdhsa_exception_fp_ieee_div_zero 0
		.amdhsa_exception_fp_ieee_overflow 0
		.amdhsa_exception_fp_ieee_underflow 0
		.amdhsa_exception_fp_ieee_inexact 0
		.amdhsa_exception_int_div_zero 0
	.end_amdhsa_kernel
	.section	.text._Z6kernelI14inclusive_scanILN6hipcub18BlockScanAlgorithmE0EEN15benchmark_utils11custom_typeIffEELj256ELj1ELj100EEvPKT0_PS7_S7_,"axG",@progbits,_Z6kernelI14inclusive_scanILN6hipcub18BlockScanAlgorithmE0EEN15benchmark_utils11custom_typeIffEELj256ELj1ELj100EEvPKT0_PS7_S7_,comdat
.Lfunc_end102:
	.size	_Z6kernelI14inclusive_scanILN6hipcub18BlockScanAlgorithmE0EEN15benchmark_utils11custom_typeIffEELj256ELj1ELj100EEvPKT0_PS7_S7_, .Lfunc_end102-_Z6kernelI14inclusive_scanILN6hipcub18BlockScanAlgorithmE0EEN15benchmark_utils11custom_typeIffEELj256ELj1ELj100EEvPKT0_PS7_S7_
                                        ; -- End function
	.section	.AMDGPU.csdata,"",@progbits
; Kernel info:
; codeLenInByte = 736
; NumSgprs: 31
; NumVgprs: 14
; NumAgprs: 0
; TotalNumVgprs: 14
; ScratchSize: 0
; MemoryBound: 0
; FloatMode: 240
; IeeeMode: 1
; LDSByteSize: 32 bytes/workgroup (compile time only)
; SGPRBlocks: 3
; VGPRBlocks: 1
; NumSGPRsForWavesPerEU: 31
; NumVGPRsForWavesPerEU: 14
; AccumOffset: 16
; Occupancy: 8
; WaveLimiterHint : 0
; COMPUTE_PGM_RSRC2:SCRATCH_EN: 0
; COMPUTE_PGM_RSRC2:USER_SGPR: 2
; COMPUTE_PGM_RSRC2:TRAP_HANDLER: 0
; COMPUTE_PGM_RSRC2:TGID_X_EN: 1
; COMPUTE_PGM_RSRC2:TGID_Y_EN: 0
; COMPUTE_PGM_RSRC2:TGID_Z_EN: 0
; COMPUTE_PGM_RSRC2:TIDIG_COMP_CNT: 0
; COMPUTE_PGM_RSRC3_GFX90A:ACCUM_OFFSET: 3
; COMPUTE_PGM_RSRC3_GFX90A:TG_SPLIT: 0
	.section	.text._Z6kernelI14inclusive_scanILN6hipcub18BlockScanAlgorithmE0EEN15benchmark_utils11custom_typeIffEELj256ELj4ELj100EEvPKT0_PS7_S7_,"axG",@progbits,_Z6kernelI14inclusive_scanILN6hipcub18BlockScanAlgorithmE0EEN15benchmark_utils11custom_typeIffEELj256ELj4ELj100EEvPKT0_PS7_S7_,comdat
	.protected	_Z6kernelI14inclusive_scanILN6hipcub18BlockScanAlgorithmE0EEN15benchmark_utils11custom_typeIffEELj256ELj4ELj100EEvPKT0_PS7_S7_ ; -- Begin function _Z6kernelI14inclusive_scanILN6hipcub18BlockScanAlgorithmE0EEN15benchmark_utils11custom_typeIffEELj256ELj4ELj100EEvPKT0_PS7_S7_
	.globl	_Z6kernelI14inclusive_scanILN6hipcub18BlockScanAlgorithmE0EEN15benchmark_utils11custom_typeIffEELj256ELj4ELj100EEvPKT0_PS7_S7_
	.p2align	8
	.type	_Z6kernelI14inclusive_scanILN6hipcub18BlockScanAlgorithmE0EEN15benchmark_utils11custom_typeIffEELj256ELj4ELj100EEvPKT0_PS7_S7_,@function
_Z6kernelI14inclusive_scanILN6hipcub18BlockScanAlgorithmE0EEN15benchmark_utils11custom_typeIffEELj256ELj4ELj100EEvPKT0_PS7_S7_: ; @_Z6kernelI14inclusive_scanILN6hipcub18BlockScanAlgorithmE0EEN15benchmark_utils11custom_typeIffEELj256ELj4ELj100EEvPKT0_PS7_S7_
; %bb.0:
	s_load_dwordx4 s[24:27], s[0:1], 0x0
	s_load_dword s3, s[0:1], 0x24
	v_mov_b32_e32 v15, 0
	v_mbcnt_lo_u32_b32 v1, -1, 0
	v_mbcnt_hi_u32_b32 v1, -1, v1
	s_waitcnt lgkmcnt(0)
	v_mov_b32_e32 v2, s24
	s_and_b32 s0, s3, 0xffff
	s_mul_i32 s2, s2, s0
	v_mov_b32_e32 v3, s25
	v_add_lshl_u32 v14, s2, v0, 2
	v_lshl_add_u64 v[10:11], v[14:15], 3, v[2:3]
	global_load_dwordx4 v[6:9], v[10:11], off offset:16
	global_load_dwordx4 v[2:5], v[10:11], off
	v_and_b32_e32 v10, 15, v1
	v_cmp_eq_u32_e32 vcc, 0, v10
	v_cmp_lt_u32_e64 s[0:1], 1, v10
	v_cmp_lt_u32_e64 s[2:3], 3, v10
	;; [unrolled: 1-line block ×3, first 2 shown]
	v_and_b32_e32 v10, 16, v1
	v_cmp_eq_u32_e64 s[6:7], 0, v10
	v_or_b32_e32 v10, 63, v0
	v_cmp_eq_u32_e64 s[10:11], v10, v0
	v_add_u32_e32 v10, -1, v1
	v_and_b32_e32 v11, 64, v1
	v_cmp_lt_i32_e64 s[16:17], v10, v11
	v_cmp_gt_u32_e64 s[12:13], 4, v0
	v_cmp_lt_u32_e64 s[14:15], 63, v0
	v_cndmask_b32_e64 v10, v10, v1, s[16:17]
	v_lshlrev_b32_e32 v20, 2, v10
	v_lshrrev_b32_e32 v10, 3, v0
	v_cmp_ne_u32_e64 s[16:17], 0, v0
	v_and_b32_e32 v21, 24, v10
	v_lshlrev_b32_e32 v22, 3, v0
	v_and_b32_e32 v0, 3, v1
	v_cmp_lt_u32_e64 s[8:9], 31, v1
	v_cmp_eq_u32_e64 s[18:19], 0, v0
	v_cmp_lt_u32_e64 s[20:21], 1, v0
	v_add_u32_e32 v23, -8, v21
	v_cmp_eq_u32_e64 s[22:23], 0, v1
	s_movk_i32 s28, 0x64
.LBB103_1:                              ; =>This Inner Loop Header: Depth=1
	s_waitcnt vmcnt(0)
	v_pk_add_f32 v[0:1], v[4:5], v[2:3]
	s_nop 0
	v_pk_add_f32 v[10:11], v[6:7], v[0:1]
	s_nop 0
	;; [unrolled: 2-line block ×3, first 2 shown]
	v_mov_b32_dpp v16, v12 row_shr:1 row_mask:0xf bank_mask:0xf
	v_mov_b32_dpp v17, v13 row_shr:1 row_mask:0xf bank_mask:0xf
	v_pk_add_f32 v[16:17], v[12:13], v[16:17]
	s_nop 0
	v_cndmask_b32_e32 v17, v17, v13, vcc
	v_cndmask_b32_e32 v16, v16, v12, vcc
	s_waitcnt lgkmcnt(0)
	v_mov_b32_dpp v19, v17 row_shr:2 row_mask:0xf bank_mask:0xf
	v_mov_b32_dpp v18, v16 row_shr:2 row_mask:0xf bank_mask:0xf
	v_pk_add_f32 v[18:19], v[16:17], v[18:19]
	s_nop 0
	v_cndmask_b32_e64 v17, v17, v19, s[0:1]
	v_cndmask_b32_e64 v16, v16, v18, s[0:1]
	s_nop 0
	v_mov_b32_dpp v19, v17 row_shr:4 row_mask:0xf bank_mask:0xf
	v_mov_b32_dpp v18, v16 row_shr:4 row_mask:0xf bank_mask:0xf
	v_pk_add_f32 v[18:19], v[16:17], v[18:19]
	s_nop 0
	v_cndmask_b32_e64 v17, v17, v19, s[2:3]
	v_cndmask_b32_e64 v16, v16, v18, s[2:3]
	s_nop 0
	;; [unrolled: 7-line block ×3, first 2 shown]
	v_mov_b32_dpp v19, v17 row_bcast:15 row_mask:0xf bank_mask:0xf
	v_mov_b32_dpp v18, v16 row_bcast:15 row_mask:0xf bank_mask:0xf
	v_pk_add_f32 v[18:19], v[16:17], v[18:19]
	s_nop 0
	v_cndmask_b32_e64 v17, v19, v17, s[6:7]
	v_cndmask_b32_e64 v16, v18, v16, s[6:7]
	s_nop 0
	v_mov_b32_dpp v19, v17 row_bcast:31 row_mask:0xf bank_mask:0xf
	v_mov_b32_dpp v18, v16 row_bcast:31 row_mask:0xf bank_mask:0xf
	v_pk_add_f32 v[18:19], v[16:17], v[18:19]
	s_and_saveexec_b64 s[24:25], s[10:11]
	s_cbranch_execz .LBB103_3
; %bb.2:                                ;   in Loop: Header=BB103_1 Depth=1
	v_cndmask_b32_e64 v25, v17, v19, s[8:9]
	v_cndmask_b32_e64 v24, v16, v18, s[8:9]
	ds_write_b64 v21, v[24:25]
.LBB103_3:                              ;   in Loop: Header=BB103_1 Depth=1
	s_or_b64 exec, exec, s[24:25]
	s_waitcnt lgkmcnt(0)
	s_barrier
	s_and_saveexec_b64 s[24:25], s[12:13]
	s_cbranch_execz .LBB103_5
; %bb.4:                                ;   in Loop: Header=BB103_1 Depth=1
	ds_read_b64 v[24:25], v22
	s_waitcnt lgkmcnt(0)
	s_nop 0
	v_mov_b32_dpp v26, v24 row_shr:1 row_mask:0xf bank_mask:0xf
	v_mov_b32_dpp v27, v25 row_shr:1 row_mask:0xf bank_mask:0xf
	v_pk_add_f32 v[26:27], v[24:25], v[26:27]
	s_nop 0
	v_cndmask_b32_e64 v25, v27, v25, s[18:19]
	v_cndmask_b32_e64 v24, v26, v24, s[18:19]
	s_nop 0
	v_mov_b32_dpp v27, v25 row_shr:2 row_mask:0xf bank_mask:0xf
	v_mov_b32_dpp v26, v24 row_shr:2 row_mask:0xf bank_mask:0xf
	v_pk_add_f32 v[26:27], v[24:25], v[26:27]
	s_nop 0
	v_cndmask_b32_e64 v25, v25, v27, s[20:21]
	v_cndmask_b32_e64 v24, v24, v26, s[20:21]
	ds_write_b64 v22, v[24:25]
.LBB103_5:                              ;   in Loop: Header=BB103_1 Depth=1
	s_or_b64 exec, exec, s[24:25]
	v_cndmask_b32_e64 v19, v17, v19, s[8:9]
	v_cndmask_b32_e64 v18, v16, v18, s[8:9]
	v_mov_b32_e32 v16, 0
	v_mov_b32_e32 v17, 0
	s_waitcnt lgkmcnt(0)
	s_barrier
	s_and_saveexec_b64 s[24:25], s[14:15]
	s_cbranch_execz .LBB103_7
; %bb.6:                                ;   in Loop: Header=BB103_1 Depth=1
	ds_read_b64 v[16:17], v23
	s_waitcnt lgkmcnt(0)
	v_pk_add_f32 v[18:19], v[18:19], v[16:17]
.LBB103_7:                              ;   in Loop: Header=BB103_1 Depth=1
	s_or_b64 exec, exec, s[24:25]
	ds_bpermute_b32 v18, v20, v18
	ds_bpermute_b32 v19, v20, v19
	s_and_saveexec_b64 s[24:25], s[16:17]
	s_cbranch_execz .LBB103_9
; %bb.8:                                ;   in Loop: Header=BB103_1 Depth=1
	s_waitcnt lgkmcnt(1)
	v_cndmask_b32_e64 v0, v18, v16, s[22:23]
	s_waitcnt lgkmcnt(0)
	v_cndmask_b32_e64 v1, v19, v17, s[22:23]
	v_pk_add_f32 v[2:3], v[2:3], v[0:1]
	s_nop 0
	v_pk_add_f32 v[0:1], v[4:5], v[2:3]
	s_nop 0
	;; [unrolled: 2-line block ×3, first 2 shown]
	v_pk_add_f32 v[12:13], v[8:9], v[10:11]
.LBB103_9:                              ;   in Loop: Header=BB103_1 Depth=1
	s_or_b64 exec, exec, s[24:25]
	s_add_i32 s28, s28, -1
	s_cmp_lg_u32 s28, 0
	s_cbranch_scc0 .LBB103_11
; %bb.10:                               ;   in Loop: Header=BB103_1 Depth=1
	v_mov_b64_e32 v[4:5], v[0:1]
	v_mov_b64_e32 v[6:7], v[10:11]
	v_mov_b64_e32 v[8:9], v[12:13]
	s_branch .LBB103_1
.LBB103_11:
	v_mov_b32_e32 v4, s26
	v_mov_b32_e32 v5, s27
	v_lshl_add_u64 v[6:7], v[14:15], 3, v[4:5]
	v_mov_b32_e32 v4, v0
	v_mov_b32_e32 v5, v1
	global_store_dwordx4 v[6:7], v[2:5], off
	global_store_dwordx4 v[6:7], v[10:13], off offset:16
	s_endpgm
	.section	.rodata,"a",@progbits
	.p2align	6, 0x0
	.amdhsa_kernel _Z6kernelI14inclusive_scanILN6hipcub18BlockScanAlgorithmE0EEN15benchmark_utils11custom_typeIffEELj256ELj4ELj100EEvPKT0_PS7_S7_
		.amdhsa_group_segment_fixed_size 32
		.amdhsa_private_segment_fixed_size 0
		.amdhsa_kernarg_size 280
		.amdhsa_user_sgpr_count 2
		.amdhsa_user_sgpr_dispatch_ptr 0
		.amdhsa_user_sgpr_queue_ptr 0
		.amdhsa_user_sgpr_kernarg_segment_ptr 1
		.amdhsa_user_sgpr_dispatch_id 0
		.amdhsa_user_sgpr_kernarg_preload_length 0
		.amdhsa_user_sgpr_kernarg_preload_offset 0
		.amdhsa_user_sgpr_private_segment_size 0
		.amdhsa_uses_dynamic_stack 0
		.amdhsa_enable_private_segment 0
		.amdhsa_system_sgpr_workgroup_id_x 1
		.amdhsa_system_sgpr_workgroup_id_y 0
		.amdhsa_system_sgpr_workgroup_id_z 0
		.amdhsa_system_sgpr_workgroup_info 0
		.amdhsa_system_vgpr_workitem_id 0
		.amdhsa_next_free_vgpr 28
		.amdhsa_next_free_sgpr 29
		.amdhsa_accum_offset 28
		.amdhsa_reserve_vcc 1
		.amdhsa_float_round_mode_32 0
		.amdhsa_float_round_mode_16_64 0
		.amdhsa_float_denorm_mode_32 3
		.amdhsa_float_denorm_mode_16_64 3
		.amdhsa_dx10_clamp 1
		.amdhsa_ieee_mode 1
		.amdhsa_fp16_overflow 0
		.amdhsa_tg_split 0
		.amdhsa_exception_fp_ieee_invalid_op 0
		.amdhsa_exception_fp_denorm_src 0
		.amdhsa_exception_fp_ieee_div_zero 0
		.amdhsa_exception_fp_ieee_overflow 0
		.amdhsa_exception_fp_ieee_underflow 0
		.amdhsa_exception_fp_ieee_inexact 0
		.amdhsa_exception_int_div_zero 0
	.end_amdhsa_kernel
	.section	.text._Z6kernelI14inclusive_scanILN6hipcub18BlockScanAlgorithmE0EEN15benchmark_utils11custom_typeIffEELj256ELj4ELj100EEvPKT0_PS7_S7_,"axG",@progbits,_Z6kernelI14inclusive_scanILN6hipcub18BlockScanAlgorithmE0EEN15benchmark_utils11custom_typeIffEELj256ELj4ELj100EEvPKT0_PS7_S7_,comdat
.Lfunc_end103:
	.size	_Z6kernelI14inclusive_scanILN6hipcub18BlockScanAlgorithmE0EEN15benchmark_utils11custom_typeIffEELj256ELj4ELj100EEvPKT0_PS7_S7_, .Lfunc_end103-_Z6kernelI14inclusive_scanILN6hipcub18BlockScanAlgorithmE0EEN15benchmark_utils11custom_typeIffEELj256ELj4ELj100EEvPKT0_PS7_S7_
                                        ; -- End function
	.section	.AMDGPU.csdata,"",@progbits
; Kernel info:
; codeLenInByte = 956
; NumSgprs: 35
; NumVgprs: 28
; NumAgprs: 0
; TotalNumVgprs: 28
; ScratchSize: 0
; MemoryBound: 0
; FloatMode: 240
; IeeeMode: 1
; LDSByteSize: 32 bytes/workgroup (compile time only)
; SGPRBlocks: 4
; VGPRBlocks: 3
; NumSGPRsForWavesPerEU: 35
; NumVGPRsForWavesPerEU: 28
; AccumOffset: 28
; Occupancy: 8
; WaveLimiterHint : 0
; COMPUTE_PGM_RSRC2:SCRATCH_EN: 0
; COMPUTE_PGM_RSRC2:USER_SGPR: 2
; COMPUTE_PGM_RSRC2:TRAP_HANDLER: 0
; COMPUTE_PGM_RSRC2:TGID_X_EN: 1
; COMPUTE_PGM_RSRC2:TGID_Y_EN: 0
; COMPUTE_PGM_RSRC2:TGID_Z_EN: 0
; COMPUTE_PGM_RSRC2:TIDIG_COMP_CNT: 0
; COMPUTE_PGM_RSRC3_GFX90A:ACCUM_OFFSET: 6
; COMPUTE_PGM_RSRC3_GFX90A:TG_SPLIT: 0
	.section	.text._Z6kernelI14inclusive_scanILN6hipcub18BlockScanAlgorithmE0EEN15benchmark_utils11custom_typeIffEELj256ELj8ELj100EEvPKT0_PS7_S7_,"axG",@progbits,_Z6kernelI14inclusive_scanILN6hipcub18BlockScanAlgorithmE0EEN15benchmark_utils11custom_typeIffEELj256ELj8ELj100EEvPKT0_PS7_S7_,comdat
	.protected	_Z6kernelI14inclusive_scanILN6hipcub18BlockScanAlgorithmE0EEN15benchmark_utils11custom_typeIffEELj256ELj8ELj100EEvPKT0_PS7_S7_ ; -- Begin function _Z6kernelI14inclusive_scanILN6hipcub18BlockScanAlgorithmE0EEN15benchmark_utils11custom_typeIffEELj256ELj8ELj100EEvPKT0_PS7_S7_
	.globl	_Z6kernelI14inclusive_scanILN6hipcub18BlockScanAlgorithmE0EEN15benchmark_utils11custom_typeIffEELj256ELj8ELj100EEvPKT0_PS7_S7_
	.p2align	8
	.type	_Z6kernelI14inclusive_scanILN6hipcub18BlockScanAlgorithmE0EEN15benchmark_utils11custom_typeIffEELj256ELj8ELj100EEvPKT0_PS7_S7_,@function
_Z6kernelI14inclusive_scanILN6hipcub18BlockScanAlgorithmE0EEN15benchmark_utils11custom_typeIffEELj256ELj8ELj100EEvPKT0_PS7_S7_: ; @_Z6kernelI14inclusive_scanILN6hipcub18BlockScanAlgorithmE0EEN15benchmark_utils11custom_typeIffEELj256ELj8ELj100EEvPKT0_PS7_S7_
; %bb.0:
	s_load_dwordx4 s[24:27], s[0:1], 0x0
	s_load_dword s3, s[0:1], 0x24
	v_mov_b32_e32 v31, 0
	v_mbcnt_lo_u32_b32 v1, -1, 0
	v_mbcnt_hi_u32_b32 v1, -1, v1
	s_waitcnt lgkmcnt(0)
	v_mov_b32_e32 v2, s24
	s_and_b32 s0, s3, 0xffff
	s_mul_i32 s2, s2, s0
	v_mov_b32_e32 v3, s25
	v_add_lshl_u32 v30, s2, v0, 3
	v_lshl_add_u64 v[18:19], v[30:31], 3, v[2:3]
	global_load_dwordx4 v[6:9], v[18:19], off offset:48
	global_load_dwordx4 v[10:13], v[18:19], off offset:32
	;; [unrolled: 1-line block ×3, first 2 shown]
	global_load_dwordx4 v[2:5], v[18:19], off
	v_and_b32_e32 v18, 15, v1
	v_cmp_eq_u32_e32 vcc, 0, v18
	v_cmp_lt_u32_e64 s[0:1], 1, v18
	v_cmp_lt_u32_e64 s[2:3], 3, v18
	;; [unrolled: 1-line block ×3, first 2 shown]
	v_and_b32_e32 v18, 16, v1
	v_cmp_eq_u32_e64 s[6:7], 0, v18
	v_or_b32_e32 v18, 63, v0
	v_cmp_eq_u32_e64 s[10:11], v18, v0
	v_add_u32_e32 v18, -1, v1
	v_and_b32_e32 v19, 64, v1
	v_cmp_lt_i32_e64 s[16:17], v18, v19
	v_cmp_gt_u32_e64 s[12:13], 4, v0
	v_cmp_lt_u32_e64 s[14:15], 63, v0
	v_cndmask_b32_e64 v18, v18, v1, s[16:17]
	v_lshlrev_b32_e32 v36, 2, v18
	v_lshrrev_b32_e32 v18, 3, v0
	v_cmp_ne_u32_e64 s[16:17], 0, v0
	v_and_b32_e32 v37, 24, v18
	v_lshlrev_b32_e32 v38, 3, v0
	v_and_b32_e32 v0, 3, v1
	v_cmp_lt_u32_e64 s[8:9], 31, v1
	v_cmp_eq_u32_e64 s[18:19], 0, v0
	v_cmp_lt_u32_e64 s[20:21], 1, v0
	v_add_u32_e32 v39, -8, v37
	v_cmp_eq_u32_e64 s[22:23], 0, v1
	s_movk_i32 s28, 0x64
.LBB104_1:                              ; =>This Inner Loop Header: Depth=1
	s_waitcnt vmcnt(0)
	v_pk_add_f32 v[0:1], v[4:5], v[2:3]
	s_nop 0
	v_pk_add_f32 v[26:27], v[14:15], v[0:1]
	s_nop 0
	;; [unrolled: 2-line block ×7, first 2 shown]
	v_mov_b32_dpp v32, v20 row_shr:1 row_mask:0xf bank_mask:0xf
	v_mov_b32_dpp v33, v21 row_shr:1 row_mask:0xf bank_mask:0xf
	v_pk_add_f32 v[32:33], v[20:21], v[32:33]
	s_nop 0
	v_cndmask_b32_e32 v33, v33, v21, vcc
	v_cndmask_b32_e32 v32, v32, v20, vcc
	s_waitcnt lgkmcnt(0)
	v_mov_b32_dpp v35, v33 row_shr:2 row_mask:0xf bank_mask:0xf
	v_mov_b32_dpp v34, v32 row_shr:2 row_mask:0xf bank_mask:0xf
	v_pk_add_f32 v[34:35], v[32:33], v[34:35]
	s_nop 0
	v_cndmask_b32_e64 v33, v33, v35, s[0:1]
	v_cndmask_b32_e64 v32, v32, v34, s[0:1]
	s_nop 0
	v_mov_b32_dpp v35, v33 row_shr:4 row_mask:0xf bank_mask:0xf
	v_mov_b32_dpp v34, v32 row_shr:4 row_mask:0xf bank_mask:0xf
	v_pk_add_f32 v[34:35], v[32:33], v[34:35]
	s_nop 0
	v_cndmask_b32_e64 v33, v33, v35, s[2:3]
	v_cndmask_b32_e64 v32, v32, v34, s[2:3]
	s_nop 0
	;; [unrolled: 7-line block ×3, first 2 shown]
	v_mov_b32_dpp v35, v33 row_bcast:15 row_mask:0xf bank_mask:0xf
	v_mov_b32_dpp v34, v32 row_bcast:15 row_mask:0xf bank_mask:0xf
	v_pk_add_f32 v[34:35], v[32:33], v[34:35]
	s_nop 0
	v_cndmask_b32_e64 v33, v35, v33, s[6:7]
	v_cndmask_b32_e64 v32, v34, v32, s[6:7]
	s_nop 0
	v_mov_b32_dpp v35, v33 row_bcast:31 row_mask:0xf bank_mask:0xf
	v_mov_b32_dpp v34, v32 row_bcast:31 row_mask:0xf bank_mask:0xf
	v_pk_add_f32 v[34:35], v[32:33], v[34:35]
	s_and_saveexec_b64 s[24:25], s[10:11]
	s_cbranch_execz .LBB104_3
; %bb.2:                                ;   in Loop: Header=BB104_1 Depth=1
	v_cndmask_b32_e64 v41, v33, v35, s[8:9]
	v_cndmask_b32_e64 v40, v32, v34, s[8:9]
	ds_write_b64 v37, v[40:41]
.LBB104_3:                              ;   in Loop: Header=BB104_1 Depth=1
	s_or_b64 exec, exec, s[24:25]
	s_waitcnt lgkmcnt(0)
	s_barrier
	s_and_saveexec_b64 s[24:25], s[12:13]
	s_cbranch_execz .LBB104_5
; %bb.4:                                ;   in Loop: Header=BB104_1 Depth=1
	ds_read_b64 v[40:41], v38
	s_waitcnt lgkmcnt(0)
	s_nop 0
	v_mov_b32_dpp v42, v40 row_shr:1 row_mask:0xf bank_mask:0xf
	v_mov_b32_dpp v43, v41 row_shr:1 row_mask:0xf bank_mask:0xf
	v_pk_add_f32 v[42:43], v[40:41], v[42:43]
	s_nop 0
	v_cndmask_b32_e64 v41, v43, v41, s[18:19]
	v_cndmask_b32_e64 v40, v42, v40, s[18:19]
	s_nop 0
	v_mov_b32_dpp v43, v41 row_shr:2 row_mask:0xf bank_mask:0xf
	v_mov_b32_dpp v42, v40 row_shr:2 row_mask:0xf bank_mask:0xf
	v_pk_add_f32 v[42:43], v[40:41], v[42:43]
	s_nop 0
	v_cndmask_b32_e64 v41, v41, v43, s[20:21]
	v_cndmask_b32_e64 v40, v40, v42, s[20:21]
	ds_write_b64 v38, v[40:41]
.LBB104_5:                              ;   in Loop: Header=BB104_1 Depth=1
	s_or_b64 exec, exec, s[24:25]
	v_cndmask_b32_e64 v35, v33, v35, s[8:9]
	v_cndmask_b32_e64 v34, v32, v34, s[8:9]
	v_mov_b32_e32 v32, 0
	v_mov_b32_e32 v33, 0
	s_waitcnt lgkmcnt(0)
	s_barrier
	s_and_saveexec_b64 s[24:25], s[14:15]
	s_cbranch_execz .LBB104_7
; %bb.6:                                ;   in Loop: Header=BB104_1 Depth=1
	ds_read_b64 v[32:33], v39
	s_waitcnt lgkmcnt(0)
	v_pk_add_f32 v[34:35], v[34:35], v[32:33]
.LBB104_7:                              ;   in Loop: Header=BB104_1 Depth=1
	s_or_b64 exec, exec, s[24:25]
	ds_bpermute_b32 v34, v36, v34
	ds_bpermute_b32 v35, v36, v35
	s_and_saveexec_b64 s[24:25], s[16:17]
	s_cbranch_execz .LBB104_9
; %bb.8:                                ;   in Loop: Header=BB104_1 Depth=1
	s_waitcnt lgkmcnt(1)
	v_cndmask_b32_e64 v0, v34, v32, s[22:23]
	s_waitcnt lgkmcnt(0)
	v_cndmask_b32_e64 v1, v35, v33, s[22:23]
	v_pk_add_f32 v[2:3], v[2:3], v[0:1]
	s_nop 0
	v_pk_add_f32 v[0:1], v[4:5], v[2:3]
	s_nop 0
	v_pk_add_f32 v[26:27], v[14:15], v[0:1]
	s_nop 0
	v_pk_add_f32 v[28:29], v[16:17], v[26:27]
	s_nop 0
	v_pk_add_f32 v[22:23], v[10:11], v[28:29]
	s_nop 0
	v_pk_add_f32 v[24:25], v[12:13], v[22:23]
	s_nop 0
	v_pk_add_f32 v[18:19], v[6:7], v[24:25]
	s_nop 0
	v_pk_add_f32 v[20:21], v[8:9], v[18:19]
.LBB104_9:                              ;   in Loop: Header=BB104_1 Depth=1
	s_or_b64 exec, exec, s[24:25]
	s_add_i32 s28, s28, -1
	s_cmp_lg_u32 s28, 0
	s_cbranch_scc0 .LBB104_11
; %bb.10:                               ;   in Loop: Header=BB104_1 Depth=1
	v_mov_b64_e32 v[4:5], v[0:1]
	v_mov_b64_e32 v[14:15], v[26:27]
	;; [unrolled: 1-line block ×7, first 2 shown]
	s_branch .LBB104_1
.LBB104_11:
	v_mov_b32_e32 v4, s26
	v_mov_b32_e32 v5, s27
	v_lshl_add_u64 v[6:7], v[30:31], 3, v[4:5]
	v_mov_b32_e32 v4, v0
	v_mov_b32_e32 v5, v1
	global_store_dwordx4 v[6:7], v[2:5], off
	global_store_dwordx4 v[6:7], v[26:29], off offset:16
	global_store_dwordx4 v[6:7], v[22:25], off offset:32
	;; [unrolled: 1-line block ×3, first 2 shown]
	s_endpgm
	.section	.rodata,"a",@progbits
	.p2align	6, 0x0
	.amdhsa_kernel _Z6kernelI14inclusive_scanILN6hipcub18BlockScanAlgorithmE0EEN15benchmark_utils11custom_typeIffEELj256ELj8ELj100EEvPKT0_PS7_S7_
		.amdhsa_group_segment_fixed_size 32
		.amdhsa_private_segment_fixed_size 0
		.amdhsa_kernarg_size 280
		.amdhsa_user_sgpr_count 2
		.amdhsa_user_sgpr_dispatch_ptr 0
		.amdhsa_user_sgpr_queue_ptr 0
		.amdhsa_user_sgpr_kernarg_segment_ptr 1
		.amdhsa_user_sgpr_dispatch_id 0
		.amdhsa_user_sgpr_kernarg_preload_length 0
		.amdhsa_user_sgpr_kernarg_preload_offset 0
		.amdhsa_user_sgpr_private_segment_size 0
		.amdhsa_uses_dynamic_stack 0
		.amdhsa_enable_private_segment 0
		.amdhsa_system_sgpr_workgroup_id_x 1
		.amdhsa_system_sgpr_workgroup_id_y 0
		.amdhsa_system_sgpr_workgroup_id_z 0
		.amdhsa_system_sgpr_workgroup_info 0
		.amdhsa_system_vgpr_workitem_id 0
		.amdhsa_next_free_vgpr 44
		.amdhsa_next_free_sgpr 29
		.amdhsa_accum_offset 44
		.amdhsa_reserve_vcc 1
		.amdhsa_float_round_mode_32 0
		.amdhsa_float_round_mode_16_64 0
		.amdhsa_float_denorm_mode_32 3
		.amdhsa_float_denorm_mode_16_64 3
		.amdhsa_dx10_clamp 1
		.amdhsa_ieee_mode 1
		.amdhsa_fp16_overflow 0
		.amdhsa_tg_split 0
		.amdhsa_exception_fp_ieee_invalid_op 0
		.amdhsa_exception_fp_denorm_src 0
		.amdhsa_exception_fp_ieee_div_zero 0
		.amdhsa_exception_fp_ieee_overflow 0
		.amdhsa_exception_fp_ieee_underflow 0
		.amdhsa_exception_fp_ieee_inexact 0
		.amdhsa_exception_int_div_zero 0
	.end_amdhsa_kernel
	.section	.text._Z6kernelI14inclusive_scanILN6hipcub18BlockScanAlgorithmE0EEN15benchmark_utils11custom_typeIffEELj256ELj8ELj100EEvPKT0_PS7_S7_,"axG",@progbits,_Z6kernelI14inclusive_scanILN6hipcub18BlockScanAlgorithmE0EEN15benchmark_utils11custom_typeIffEELj256ELj8ELj100EEvPKT0_PS7_S7_,comdat
.Lfunc_end104:
	.size	_Z6kernelI14inclusive_scanILN6hipcub18BlockScanAlgorithmE0EEN15benchmark_utils11custom_typeIffEELj256ELj8ELj100EEvPKT0_PS7_S7_, .Lfunc_end104-_Z6kernelI14inclusive_scanILN6hipcub18BlockScanAlgorithmE0EEN15benchmark_utils11custom_typeIffEELj256ELj8ELj100EEvPKT0_PS7_S7_
                                        ; -- End function
	.section	.AMDGPU.csdata,"",@progbits
; Kernel info:
; codeLenInByte = 1100
; NumSgprs: 35
; NumVgprs: 44
; NumAgprs: 0
; TotalNumVgprs: 44
; ScratchSize: 0
; MemoryBound: 0
; FloatMode: 240
; IeeeMode: 1
; LDSByteSize: 32 bytes/workgroup (compile time only)
; SGPRBlocks: 4
; VGPRBlocks: 5
; NumSGPRsForWavesPerEU: 35
; NumVGPRsForWavesPerEU: 44
; AccumOffset: 44
; Occupancy: 8
; WaveLimiterHint : 0
; COMPUTE_PGM_RSRC2:SCRATCH_EN: 0
; COMPUTE_PGM_RSRC2:USER_SGPR: 2
; COMPUTE_PGM_RSRC2:TRAP_HANDLER: 0
; COMPUTE_PGM_RSRC2:TGID_X_EN: 1
; COMPUTE_PGM_RSRC2:TGID_Y_EN: 0
; COMPUTE_PGM_RSRC2:TGID_Z_EN: 0
; COMPUTE_PGM_RSRC2:TIDIG_COMP_CNT: 0
; COMPUTE_PGM_RSRC3_GFX90A:ACCUM_OFFSET: 10
; COMPUTE_PGM_RSRC3_GFX90A:TG_SPLIT: 0
	.section	.text._Z6kernelI14inclusive_scanILN6hipcub18BlockScanAlgorithmE0EEN15benchmark_utils11custom_typeIddEELj256ELj1ELj100EEvPKT0_PS7_S7_,"axG",@progbits,_Z6kernelI14inclusive_scanILN6hipcub18BlockScanAlgorithmE0EEN15benchmark_utils11custom_typeIddEELj256ELj1ELj100EEvPKT0_PS7_S7_,comdat
	.protected	_Z6kernelI14inclusive_scanILN6hipcub18BlockScanAlgorithmE0EEN15benchmark_utils11custom_typeIddEELj256ELj1ELj100EEvPKT0_PS7_S7_ ; -- Begin function _Z6kernelI14inclusive_scanILN6hipcub18BlockScanAlgorithmE0EEN15benchmark_utils11custom_typeIddEELj256ELj1ELj100EEvPKT0_PS7_S7_
	.globl	_Z6kernelI14inclusive_scanILN6hipcub18BlockScanAlgorithmE0EEN15benchmark_utils11custom_typeIddEELj256ELj1ELj100EEvPKT0_PS7_S7_
	.p2align	8
	.type	_Z6kernelI14inclusive_scanILN6hipcub18BlockScanAlgorithmE0EEN15benchmark_utils11custom_typeIddEELj256ELj1ELj100EEvPKT0_PS7_S7_,@function
_Z6kernelI14inclusive_scanILN6hipcub18BlockScanAlgorithmE0EEN15benchmark_utils11custom_typeIddEELj256ELj1ELj100EEvPKT0_PS7_S7_: ; @_Z6kernelI14inclusive_scanILN6hipcub18BlockScanAlgorithmE0EEN15benchmark_utils11custom_typeIddEELj256ELj1ELj100EEvPKT0_PS7_S7_
; %bb.0:
	s_load_dwordx4 s[20:23], s[0:1], 0x0
	s_load_dword s3, s[0:1], 0x2c
	v_mov_b32_e32 v11, 0
	v_mbcnt_lo_u32_b32 v1, -1, 0
	v_mbcnt_hi_u32_b32 v1, -1, v1
	s_waitcnt lgkmcnt(0)
	v_mov_b32_e32 v2, s20
	s_and_b32 s0, s3, 0xffff
	s_mul_i32 s2, s2, s0
	v_mov_b32_e32 v3, s21
	v_add_u32_e32 v10, s2, v0
	v_lshl_add_u64 v[2:3], v[10:11], 4, v[2:3]
	global_load_dwordx4 v[2:5], v[2:3], off
	v_and_b32_e32 v6, 15, v1
	v_cmp_ne_u32_e32 vcc, 0, v6
	v_cmp_lt_u32_e64 s[0:1], 1, v6
	v_cmp_lt_u32_e64 s[2:3], 3, v6
	;; [unrolled: 1-line block ×3, first 2 shown]
	v_and_b32_e32 v6, 16, v1
	v_cmp_ne_u32_e64 s[6:7], 0, v6
	v_or_b32_e32 v6, 63, v0
	v_cmp_eq_u32_e64 s[10:11], v6, v0
	v_lshrrev_b32_e32 v6, 2, v0
	v_cmp_gt_u32_e64 s[12:13], 4, v0
	v_cmp_lt_u32_e64 s[14:15], 63, v0
	v_and_b32_e32 v14, 48, v6
	v_lshlrev_b32_e32 v15, 4, v0
	v_and_b32_e32 v0, 3, v1
	v_cmp_lt_u32_e64 s[8:9], 31, v1
	v_cmp_ne_u32_e64 s[16:17], 0, v0
	v_cmp_lt_u32_e64 s[18:19], 1, v0
	v_add_u32_e32 v16, -16, v14
	s_movk_i32 s26, 0x64
	s_branch .LBB105_2
.LBB105_1:                              ;   in Loop: Header=BB105_2 Depth=1
	s_or_b64 exec, exec, s[20:21]
	s_add_i32 s26, s26, -1
	s_cmp_lg_u32 s26, 0
	s_cbranch_scc0 .LBB105_24
.LBB105_2:                              ; =>This Inner Loop Header: Depth=1
	s_waitcnt vmcnt(0)
	v_mov_b32_dpp v0, v2 row_shr:1 row_mask:0xf bank_mask:0xf
	v_mov_b32_dpp v1, v3 row_shr:1 row_mask:0xf bank_mask:0xf
	;; [unrolled: 1-line block ×4, first 2 shown]
	s_and_saveexec_b64 s[20:21], vcc
; %bb.3:                                ;   in Loop: Header=BB105_2 Depth=1
	v_add_f64 v[4:5], v[4:5], v[6:7]
	v_add_f64 v[2:3], v[2:3], v[0:1]
; %bb.4:                                ;   in Loop: Header=BB105_2 Depth=1
	s_or_b64 exec, exec, s[20:21]
	s_nop 0
	v_mov_b32_dpp v0, v2 row_shr:2 row_mask:0xf bank_mask:0xf
	v_mov_b32_dpp v1, v3 row_shr:2 row_mask:0xf bank_mask:0xf
	v_mov_b32_dpp v6, v4 row_shr:2 row_mask:0xf bank_mask:0xf
	v_mov_b32_dpp v7, v5 row_shr:2 row_mask:0xf bank_mask:0xf
	s_and_saveexec_b64 s[20:21], s[0:1]
; %bb.5:                                ;   in Loop: Header=BB105_2 Depth=1
	v_add_f64 v[4:5], v[4:5], v[6:7]
	v_add_f64 v[2:3], v[2:3], v[0:1]
; %bb.6:                                ;   in Loop: Header=BB105_2 Depth=1
	s_or_b64 exec, exec, s[20:21]
	s_nop 0
	v_mov_b32_dpp v0, v2 row_shr:4 row_mask:0xf bank_mask:0xf
	v_mov_b32_dpp v1, v3 row_shr:4 row_mask:0xf bank_mask:0xf
	v_mov_b32_dpp v6, v4 row_shr:4 row_mask:0xf bank_mask:0xf
	v_mov_b32_dpp v7, v5 row_shr:4 row_mask:0xf bank_mask:0xf
	s_and_saveexec_b64 s[20:21], s[2:3]
	;; [unrolled: 11-line block ×3, first 2 shown]
; %bb.9:                                ;   in Loop: Header=BB105_2 Depth=1
	v_add_f64 v[4:5], v[4:5], v[6:7]
	v_add_f64 v[2:3], v[2:3], v[0:1]
; %bb.10:                               ;   in Loop: Header=BB105_2 Depth=1
	s_or_b64 exec, exec, s[20:21]
	s_nop 0
	v_mov_b32_dpp v0, v2 row_bcast:15 row_mask:0xf bank_mask:0xf
	v_mov_b32_dpp v1, v3 row_bcast:15 row_mask:0xf bank_mask:0xf
	;; [unrolled: 1-line block ×4, first 2 shown]
	s_and_saveexec_b64 s[20:21], s[6:7]
; %bb.11:                               ;   in Loop: Header=BB105_2 Depth=1
	v_add_f64 v[4:5], v[4:5], v[6:7]
	v_add_f64 v[2:3], v[2:3], v[0:1]
; %bb.12:                               ;   in Loop: Header=BB105_2 Depth=1
	s_or_b64 exec, exec, s[20:21]
	s_nop 0
	v_mov_b32_dpp v0, v2 row_bcast:31 row_mask:0xf bank_mask:0xf
	v_mov_b32_dpp v1, v3 row_bcast:31 row_mask:0xf bank_mask:0xf
	;; [unrolled: 1-line block ×4, first 2 shown]
	s_and_saveexec_b64 s[20:21], s[8:9]
; %bb.13:                               ;   in Loop: Header=BB105_2 Depth=1
	v_add_f64 v[4:5], v[4:5], v[6:7]
	v_add_f64 v[2:3], v[2:3], v[0:1]
; %bb.14:                               ;   in Loop: Header=BB105_2 Depth=1
	s_or_b64 exec, exec, s[20:21]
	s_and_saveexec_b64 s[20:21], s[10:11]
	s_cbranch_execz .LBB105_16
; %bb.15:                               ;   in Loop: Header=BB105_2 Depth=1
	ds_write2_b64 v14, v[2:3], v[4:5] offset1:1
.LBB105_16:                             ;   in Loop: Header=BB105_2 Depth=1
	s_or_b64 exec, exec, s[20:21]
	s_waitcnt lgkmcnt(0)
	s_barrier
	s_and_saveexec_b64 s[20:21], s[12:13]
	s_cbranch_execz .LBB105_22
; %bb.17:                               ;   in Loop: Header=BB105_2 Depth=1
	ds_read2_b64 v[6:9], v15 offset1:1
	s_waitcnt lgkmcnt(0)
	s_nop 0
	v_mov_b32_dpp v0, v6 row_shr:1 row_mask:0xf bank_mask:0xf
	v_mov_b32_dpp v1, v7 row_shr:1 row_mask:0xf bank_mask:0xf
	v_mov_b32_dpp v12, v8 row_shr:1 row_mask:0xf bank_mask:0xf
	v_mov_b32_dpp v13, v9 row_shr:1 row_mask:0xf bank_mask:0xf
	s_and_saveexec_b64 s[24:25], s[16:17]
; %bb.18:                               ;   in Loop: Header=BB105_2 Depth=1
	v_add_f64 v[8:9], v[8:9], v[12:13]
	v_add_f64 v[6:7], v[6:7], v[0:1]
; %bb.19:                               ;   in Loop: Header=BB105_2 Depth=1
	s_or_b64 exec, exec, s[24:25]
	s_nop 0
	v_mov_b32_dpp v0, v6 row_shr:2 row_mask:0xf bank_mask:0xf
	v_mov_b32_dpp v1, v7 row_shr:2 row_mask:0xf bank_mask:0xf
	;; [unrolled: 1-line block ×4, first 2 shown]
	s_and_saveexec_b64 s[24:25], s[18:19]
; %bb.20:                               ;   in Loop: Header=BB105_2 Depth=1
	v_add_f64 v[8:9], v[8:9], v[12:13]
	v_add_f64 v[6:7], v[6:7], v[0:1]
; %bb.21:                               ;   in Loop: Header=BB105_2 Depth=1
	s_or_b64 exec, exec, s[24:25]
	ds_write2_b64 v15, v[6:7], v[8:9] offset1:1
.LBB105_22:                             ;   in Loop: Header=BB105_2 Depth=1
	s_or_b64 exec, exec, s[20:21]
	s_waitcnt lgkmcnt(0)
	s_barrier
	s_and_saveexec_b64 s[20:21], s[14:15]
	s_cbranch_execz .LBB105_1
; %bb.23:                               ;   in Loop: Header=BB105_2 Depth=1
	ds_read2_b64 v[6:9], v16 offset1:1
	s_waitcnt lgkmcnt(0)
	v_add_f64 v[4:5], v[4:5], v[8:9]
	v_add_f64 v[2:3], v[2:3], v[6:7]
	s_branch .LBB105_1
.LBB105_24:
	v_mov_b32_e32 v0, s22
	v_mov_b32_e32 v1, s23
	v_lshl_add_u64 v[0:1], v[10:11], 4, v[0:1]
	global_store_dwordx4 v[0:1], v[2:5], off
	s_endpgm
	.section	.rodata,"a",@progbits
	.p2align	6, 0x0
	.amdhsa_kernel _Z6kernelI14inclusive_scanILN6hipcub18BlockScanAlgorithmE0EEN15benchmark_utils11custom_typeIddEELj256ELj1ELj100EEvPKT0_PS7_S7_
		.amdhsa_group_segment_fixed_size 64
		.amdhsa_private_segment_fixed_size 0
		.amdhsa_kernarg_size 288
		.amdhsa_user_sgpr_count 2
		.amdhsa_user_sgpr_dispatch_ptr 0
		.amdhsa_user_sgpr_queue_ptr 0
		.amdhsa_user_sgpr_kernarg_segment_ptr 1
		.amdhsa_user_sgpr_dispatch_id 0
		.amdhsa_user_sgpr_kernarg_preload_length 0
		.amdhsa_user_sgpr_kernarg_preload_offset 0
		.amdhsa_user_sgpr_private_segment_size 0
		.amdhsa_uses_dynamic_stack 0
		.amdhsa_enable_private_segment 0
		.amdhsa_system_sgpr_workgroup_id_x 1
		.amdhsa_system_sgpr_workgroup_id_y 0
		.amdhsa_system_sgpr_workgroup_id_z 0
		.amdhsa_system_sgpr_workgroup_info 0
		.amdhsa_system_vgpr_workitem_id 0
		.amdhsa_next_free_vgpr 17
		.amdhsa_next_free_sgpr 27
		.amdhsa_accum_offset 20
		.amdhsa_reserve_vcc 1
		.amdhsa_float_round_mode_32 0
		.amdhsa_float_round_mode_16_64 0
		.amdhsa_float_denorm_mode_32 3
		.amdhsa_float_denorm_mode_16_64 3
		.amdhsa_dx10_clamp 1
		.amdhsa_ieee_mode 1
		.amdhsa_fp16_overflow 0
		.amdhsa_tg_split 0
		.amdhsa_exception_fp_ieee_invalid_op 0
		.amdhsa_exception_fp_denorm_src 0
		.amdhsa_exception_fp_ieee_div_zero 0
		.amdhsa_exception_fp_ieee_overflow 0
		.amdhsa_exception_fp_ieee_underflow 0
		.amdhsa_exception_fp_ieee_inexact 0
		.amdhsa_exception_int_div_zero 0
	.end_amdhsa_kernel
	.section	.text._Z6kernelI14inclusive_scanILN6hipcub18BlockScanAlgorithmE0EEN15benchmark_utils11custom_typeIddEELj256ELj1ELj100EEvPKT0_PS7_S7_,"axG",@progbits,_Z6kernelI14inclusive_scanILN6hipcub18BlockScanAlgorithmE0EEN15benchmark_utils11custom_typeIddEELj256ELj1ELj100EEvPKT0_PS7_S7_,comdat
.Lfunc_end105:
	.size	_Z6kernelI14inclusive_scanILN6hipcub18BlockScanAlgorithmE0EEN15benchmark_utils11custom_typeIddEELj256ELj1ELj100EEvPKT0_PS7_S7_, .Lfunc_end105-_Z6kernelI14inclusive_scanILN6hipcub18BlockScanAlgorithmE0EEN15benchmark_utils11custom_typeIddEELj256ELj1ELj100EEvPKT0_PS7_S7_
                                        ; -- End function
	.section	.AMDGPU.csdata,"",@progbits
; Kernel info:
; codeLenInByte = 836
; NumSgprs: 33
; NumVgprs: 17
; NumAgprs: 0
; TotalNumVgprs: 17
; ScratchSize: 0
; MemoryBound: 0
; FloatMode: 240
; IeeeMode: 1
; LDSByteSize: 64 bytes/workgroup (compile time only)
; SGPRBlocks: 4
; VGPRBlocks: 2
; NumSGPRsForWavesPerEU: 33
; NumVGPRsForWavesPerEU: 17
; AccumOffset: 20
; Occupancy: 8
; WaveLimiterHint : 0
; COMPUTE_PGM_RSRC2:SCRATCH_EN: 0
; COMPUTE_PGM_RSRC2:USER_SGPR: 2
; COMPUTE_PGM_RSRC2:TRAP_HANDLER: 0
; COMPUTE_PGM_RSRC2:TGID_X_EN: 1
; COMPUTE_PGM_RSRC2:TGID_Y_EN: 0
; COMPUTE_PGM_RSRC2:TGID_Z_EN: 0
; COMPUTE_PGM_RSRC2:TIDIG_COMP_CNT: 0
; COMPUTE_PGM_RSRC3_GFX90A:ACCUM_OFFSET: 4
; COMPUTE_PGM_RSRC3_GFX90A:TG_SPLIT: 0
	.section	.text._Z6kernelI14inclusive_scanILN6hipcub18BlockScanAlgorithmE0EEN15benchmark_utils11custom_typeIddEELj256ELj4ELj100EEvPKT0_PS7_S7_,"axG",@progbits,_Z6kernelI14inclusive_scanILN6hipcub18BlockScanAlgorithmE0EEN15benchmark_utils11custom_typeIddEELj256ELj4ELj100EEvPKT0_PS7_S7_,comdat
	.protected	_Z6kernelI14inclusive_scanILN6hipcub18BlockScanAlgorithmE0EEN15benchmark_utils11custom_typeIddEELj256ELj4ELj100EEvPKT0_PS7_S7_ ; -- Begin function _Z6kernelI14inclusive_scanILN6hipcub18BlockScanAlgorithmE0EEN15benchmark_utils11custom_typeIddEELj256ELj4ELj100EEvPKT0_PS7_S7_
	.globl	_Z6kernelI14inclusive_scanILN6hipcub18BlockScanAlgorithmE0EEN15benchmark_utils11custom_typeIddEELj256ELj4ELj100EEvPKT0_PS7_S7_
	.p2align	8
	.type	_Z6kernelI14inclusive_scanILN6hipcub18BlockScanAlgorithmE0EEN15benchmark_utils11custom_typeIddEELj256ELj4ELj100EEvPKT0_PS7_S7_,@function
_Z6kernelI14inclusive_scanILN6hipcub18BlockScanAlgorithmE0EEN15benchmark_utils11custom_typeIddEELj256ELj4ELj100EEvPKT0_PS7_S7_: ; @_Z6kernelI14inclusive_scanILN6hipcub18BlockScanAlgorithmE0EEN15benchmark_utils11custom_typeIddEELj256ELj4ELj100EEvPKT0_PS7_S7_
; %bb.0:
	s_load_dwordx4 s[24:27], s[0:1], 0x0
	s_load_dword s3, s[0:1], 0x2c
	v_mov_b32_e32 v39, 0
	v_mbcnt_lo_u32_b32 v1, -1, 0
	v_mbcnt_hi_u32_b32 v1, -1, v1
	s_waitcnt lgkmcnt(0)
	v_mov_b32_e32 v2, s24
	s_and_b32 s0, s3, 0xffff
	s_mul_i32 s2, s2, s0
	v_mov_b32_e32 v3, s25
	v_add_lshl_u32 v38, s2, v0, 2
	v_lshl_add_u64 v[18:19], v[38:39], 4, v[2:3]
	global_load_dwordx4 v[6:9], v[18:19], off offset:48
	global_load_dwordx4 v[10:13], v[18:19], off offset:32
	global_load_dwordx4 v[14:17], v[18:19], off offset:16
	global_load_dwordx4 v[2:5], v[18:19], off
	v_and_b32_e32 v18, 15, v1
	v_cmp_ne_u32_e32 vcc, 0, v18
	v_cmp_lt_u32_e64 s[0:1], 1, v18
	v_cmp_lt_u32_e64 s[2:3], 3, v18
	;; [unrolled: 1-line block ×3, first 2 shown]
	v_and_b32_e32 v18, 16, v1
	v_cmp_ne_u32_e64 s[6:7], 0, v18
	v_or_b32_e32 v18, 63, v0
	v_cmp_eq_u32_e64 s[10:11], v18, v0
	v_add_u32_e32 v18, -1, v1
	v_and_b32_e32 v19, 64, v1
	v_cmp_lt_i32_e64 s[16:17], v18, v19
	v_cmp_gt_u32_e64 s[12:13], 4, v0
	v_cmp_lt_u32_e64 s[14:15], 63, v0
	v_cndmask_b32_e64 v18, v18, v1, s[16:17]
	v_lshlrev_b32_e32 v42, 2, v18
	v_lshrrev_b32_e32 v18, 2, v0
	v_cmp_ne_u32_e64 s[16:17], 0, v0
	v_and_b32_e32 v43, 48, v18
	v_lshlrev_b32_e32 v44, 4, v0
	v_and_b32_e32 v0, 3, v1
	v_cmp_lt_u32_e64 s[8:9], 31, v1
	v_cmp_ne_u32_e64 s[18:19], 0, v0
	v_cmp_lt_u32_e64 s[20:21], 1, v0
	v_add_u32_e32 v45, -16, v43
	v_cmp_eq_u32_e64 s[22:23], 0, v1
	s_movk_i32 s30, 0x64
.LBB106_1:                              ; =>This Inner Loop Header: Depth=1
	s_waitcnt vmcnt(0)
	v_add_f64 v[20:21], v[4:5], v[16:17]
	v_add_f64 v[18:19], v[14:15], v[2:3]
	;; [unrolled: 1-line block ×6, first 2 shown]
	s_waitcnt lgkmcnt(0)
	v_mov_b64_e32 v[32:33], v[28:29]
	v_mov_b32_dpp v40, v28 row_shr:1 row_mask:0xf bank_mask:0xf
	v_mov_b32_dpp v0, v26 row_shr:1 row_mask:0xf bank_mask:0xf
	;; [unrolled: 1-line block ×4, first 2 shown]
	v_mov_b32_e32 v37, v29
	v_mov_b32_e32 v36, v28
	;; [unrolled: 1-line block ×4, first 2 shown]
	v_mov_b64_e32 v[30:31], v[26:27]
	s_and_saveexec_b64 s[24:25], vcc
; %bb.2:                                ;   in Loop: Header=BB106_1 Depth=1
	v_add_f64 v[34:35], v[26:27], v[0:1]
	v_add_f64 v[36:37], v[28:29], v[40:41]
	v_mov_b64_e32 v[30:31], v[34:35]
	v_mov_b64_e32 v[32:33], v[36:37]
; %bb.3:                                ;   in Loop: Header=BB106_1 Depth=1
	s_or_b64 exec, exec, s[24:25]
	v_mov_b32_dpp v0, v34 row_shr:2 row_mask:0xf bank_mask:0xf
	v_mov_b32_dpp v1, v35 row_shr:2 row_mask:0xf bank_mask:0xf
	v_mov_b32_dpp v40, v36 row_shr:2 row_mask:0xf bank_mask:0xf
	v_mov_b32_dpp v41, v37 row_shr:2 row_mask:0xf bank_mask:0xf
	s_and_saveexec_b64 s[24:25], s[0:1]
; %bb.4:                                ;   in Loop: Header=BB106_1 Depth=1
	v_add_f64 v[36:37], v[32:33], v[40:41]
	v_add_f64 v[34:35], v[30:31], v[0:1]
	v_mov_b64_e32 v[30:31], v[34:35]
	v_mov_b64_e32 v[32:33], v[36:37]
; %bb.5:                                ;   in Loop: Header=BB106_1 Depth=1
	s_or_b64 exec, exec, s[24:25]
	v_mov_b32_dpp v0, v34 row_shr:4 row_mask:0xf bank_mask:0xf
	v_mov_b32_dpp v1, v35 row_shr:4 row_mask:0xf bank_mask:0xf
	v_mov_b32_dpp v40, v36 row_shr:4 row_mask:0xf bank_mask:0xf
	v_mov_b32_dpp v41, v37 row_shr:4 row_mask:0xf bank_mask:0xf
	s_and_saveexec_b64 s[24:25], s[2:3]
	;; [unrolled: 12-line block ×3, first 2 shown]
; %bb.8:                                ;   in Loop: Header=BB106_1 Depth=1
	v_add_f64 v[36:37], v[32:33], v[40:41]
	v_add_f64 v[34:35], v[30:31], v[0:1]
	v_mov_b64_e32 v[30:31], v[34:35]
	v_mov_b64_e32 v[32:33], v[36:37]
; %bb.9:                                ;   in Loop: Header=BB106_1 Depth=1
	s_or_b64 exec, exec, s[24:25]
	v_mov_b32_dpp v0, v34 row_bcast:15 row_mask:0xf bank_mask:0xf
	v_mov_b32_dpp v1, v35 row_bcast:15 row_mask:0xf bank_mask:0xf
	;; [unrolled: 1-line block ×4, first 2 shown]
	s_and_saveexec_b64 s[24:25], s[6:7]
; %bb.10:                               ;   in Loop: Header=BB106_1 Depth=1
	v_add_f64 v[32:33], v[32:33], v[40:41]
	v_add_f64 v[30:31], v[30:31], v[0:1]
	v_mov_b32_e32 v37, v33
	v_mov_b32_e32 v36, v32
	;; [unrolled: 1-line block ×4, first 2 shown]
; %bb.11:                               ;   in Loop: Header=BB106_1 Depth=1
	s_or_b64 exec, exec, s[24:25]
	s_nop 0
	v_mov_b32_dpp v0, v34 row_bcast:31 row_mask:0xf bank_mask:0xf
	v_mov_b32_dpp v1, v35 row_bcast:31 row_mask:0xf bank_mask:0xf
	;; [unrolled: 1-line block ×4, first 2 shown]
	s_and_saveexec_b64 s[24:25], s[8:9]
; %bb.12:                               ;   in Loop: Header=BB106_1 Depth=1
	v_add_f64 v[32:33], v[32:33], v[34:35]
	v_add_f64 v[30:31], v[30:31], v[0:1]
; %bb.13:                               ;   in Loop: Header=BB106_1 Depth=1
	s_or_b64 exec, exec, s[24:25]
	s_and_saveexec_b64 s[24:25], s[10:11]
	s_cbranch_execz .LBB106_15
; %bb.14:                               ;   in Loop: Header=BB106_1 Depth=1
	ds_write2_b64 v43, v[30:31], v[32:33] offset1:1
.LBB106_15:                             ;   in Loop: Header=BB106_1 Depth=1
	s_or_b64 exec, exec, s[24:25]
	s_waitcnt lgkmcnt(0)
	s_barrier
	s_and_saveexec_b64 s[24:25], s[12:13]
	s_cbranch_execz .LBB106_21
; %bb.16:                               ;   in Loop: Header=BB106_1 Depth=1
	ds_read2_b64 v[34:37], v44 offset1:1
	s_waitcnt lgkmcnt(0)
	s_nop 0
	v_mov_b32_dpp v0, v34 row_shr:1 row_mask:0xf bank_mask:0xf
	v_mov_b32_dpp v1, v35 row_shr:1 row_mask:0xf bank_mask:0xf
	;; [unrolled: 1-line block ×4, first 2 shown]
	s_and_saveexec_b64 s[28:29], s[18:19]
; %bb.17:                               ;   in Loop: Header=BB106_1 Depth=1
	v_add_f64 v[36:37], v[36:37], v[40:41]
	v_add_f64 v[34:35], v[34:35], v[0:1]
; %bb.18:                               ;   in Loop: Header=BB106_1 Depth=1
	s_or_b64 exec, exec, s[28:29]
	s_nop 0
	v_mov_b32_dpp v0, v34 row_shr:2 row_mask:0xf bank_mask:0xf
	v_mov_b32_dpp v1, v35 row_shr:2 row_mask:0xf bank_mask:0xf
	;; [unrolled: 1-line block ×4, first 2 shown]
	s_and_saveexec_b64 s[28:29], s[20:21]
; %bb.19:                               ;   in Loop: Header=BB106_1 Depth=1
	v_add_f64 v[36:37], v[36:37], v[40:41]
	v_add_f64 v[34:35], v[34:35], v[0:1]
; %bb.20:                               ;   in Loop: Header=BB106_1 Depth=1
	s_or_b64 exec, exec, s[28:29]
	ds_write2_b64 v44, v[34:35], v[36:37] offset1:1
.LBB106_21:                             ;   in Loop: Header=BB106_1 Depth=1
	s_or_b64 exec, exec, s[24:25]
	v_mov_b64_e32 v[34:35], 0
	v_mov_b64_e32 v[36:37], v[34:35]
	s_waitcnt lgkmcnt(0)
	s_barrier
	s_and_saveexec_b64 s[24:25], s[14:15]
	s_cbranch_execz .LBB106_23
; %bb.22:                               ;   in Loop: Header=BB106_1 Depth=1
	ds_read2_b64 v[34:37], v45 offset1:1
	s_waitcnt lgkmcnt(0)
	v_add_f64 v[30:31], v[30:31], v[34:35]
	v_add_f64 v[32:33], v[32:33], v[36:37]
.LBB106_23:                             ;   in Loop: Header=BB106_1 Depth=1
	s_or_b64 exec, exec, s[24:25]
	ds_bpermute_b32 v1, v42, v30
	ds_bpermute_b32 v31, v42, v31
	;; [unrolled: 1-line block ×4, first 2 shown]
	s_and_saveexec_b64 s[24:25], s[16:17]
	s_cbranch_execz .LBB106_25
; %bb.24:                               ;   in Loop: Header=BB106_1 Depth=1
	s_waitcnt lgkmcnt(2)
	v_cndmask_b32_e64 v19, v31, v35, s[22:23]
	v_cndmask_b32_e64 v18, v1, v34, s[22:23]
	s_waitcnt lgkmcnt(0)
	v_cndmask_b32_e64 v1, v30, v37, s[22:23]
	v_cndmask_b32_e64 v0, v0, v36, s[22:23]
	v_add_f64 v[4:5], v[4:5], v[0:1]
	v_add_f64 v[2:3], v[2:3], v[18:19]
	;; [unrolled: 1-line block ×8, first 2 shown]
.LBB106_25:                             ;   in Loop: Header=BB106_1 Depth=1
	s_or_b64 exec, exec, s[24:25]
	s_add_i32 s30, s30, -1
	s_cmp_lg_u32 s30, 0
	s_cbranch_scc0 .LBB106_27
; %bb.26:                               ;   in Loop: Header=BB106_1 Depth=1
	v_mov_b64_e32 v[6:7], v[26:27]
	v_mov_b64_e32 v[10:11], v[22:23]
	;; [unrolled: 1-line block ×6, first 2 shown]
	s_branch .LBB106_1
.LBB106_27:
	s_waitcnt lgkmcnt(1)
	v_mov_b32_e32 v0, s26
	v_mov_b32_e32 v1, s27
	v_lshl_add_u64 v[0:1], v[38:39], 4, v[0:1]
	global_store_dwordx4 v[0:1], v[2:5], off
	global_store_dwordx4 v[0:1], v[18:21], off offset:16
	global_store_dwordx4 v[0:1], v[22:25], off offset:32
	;; [unrolled: 1-line block ×3, first 2 shown]
	s_endpgm
	.section	.rodata,"a",@progbits
	.p2align	6, 0x0
	.amdhsa_kernel _Z6kernelI14inclusive_scanILN6hipcub18BlockScanAlgorithmE0EEN15benchmark_utils11custom_typeIddEELj256ELj4ELj100EEvPKT0_PS7_S7_
		.amdhsa_group_segment_fixed_size 64
		.amdhsa_private_segment_fixed_size 0
		.amdhsa_kernarg_size 288
		.amdhsa_user_sgpr_count 2
		.amdhsa_user_sgpr_dispatch_ptr 0
		.amdhsa_user_sgpr_queue_ptr 0
		.amdhsa_user_sgpr_kernarg_segment_ptr 1
		.amdhsa_user_sgpr_dispatch_id 0
		.amdhsa_user_sgpr_kernarg_preload_length 0
		.amdhsa_user_sgpr_kernarg_preload_offset 0
		.amdhsa_user_sgpr_private_segment_size 0
		.amdhsa_uses_dynamic_stack 0
		.amdhsa_enable_private_segment 0
		.amdhsa_system_sgpr_workgroup_id_x 1
		.amdhsa_system_sgpr_workgroup_id_y 0
		.amdhsa_system_sgpr_workgroup_id_z 0
		.amdhsa_system_sgpr_workgroup_info 0
		.amdhsa_system_vgpr_workitem_id 0
		.amdhsa_next_free_vgpr 46
		.amdhsa_next_free_sgpr 31
		.amdhsa_accum_offset 48
		.amdhsa_reserve_vcc 1
		.amdhsa_float_round_mode_32 0
		.amdhsa_float_round_mode_16_64 0
		.amdhsa_float_denorm_mode_32 3
		.amdhsa_float_denorm_mode_16_64 3
		.amdhsa_dx10_clamp 1
		.amdhsa_ieee_mode 1
		.amdhsa_fp16_overflow 0
		.amdhsa_tg_split 0
		.amdhsa_exception_fp_ieee_invalid_op 0
		.amdhsa_exception_fp_denorm_src 0
		.amdhsa_exception_fp_ieee_div_zero 0
		.amdhsa_exception_fp_ieee_overflow 0
		.amdhsa_exception_fp_ieee_underflow 0
		.amdhsa_exception_fp_ieee_inexact 0
		.amdhsa_exception_int_div_zero 0
	.end_amdhsa_kernel
	.section	.text._Z6kernelI14inclusive_scanILN6hipcub18BlockScanAlgorithmE0EEN15benchmark_utils11custom_typeIddEELj256ELj4ELj100EEvPKT0_PS7_S7_,"axG",@progbits,_Z6kernelI14inclusive_scanILN6hipcub18BlockScanAlgorithmE0EEN15benchmark_utils11custom_typeIddEELj256ELj4ELj100EEvPKT0_PS7_S7_,comdat
.Lfunc_end106:
	.size	_Z6kernelI14inclusive_scanILN6hipcub18BlockScanAlgorithmE0EEN15benchmark_utils11custom_typeIddEELj256ELj4ELj100EEvPKT0_PS7_S7_, .Lfunc_end106-_Z6kernelI14inclusive_scanILN6hipcub18BlockScanAlgorithmE0EEN15benchmark_utils11custom_typeIddEELj256ELj4ELj100EEvPKT0_PS7_S7_
                                        ; -- End function
	.section	.AMDGPU.csdata,"",@progbits
; Kernel info:
; codeLenInByte = 1220
; NumSgprs: 37
; NumVgprs: 46
; NumAgprs: 0
; TotalNumVgprs: 46
; ScratchSize: 0
; MemoryBound: 0
; FloatMode: 240
; IeeeMode: 1
; LDSByteSize: 64 bytes/workgroup (compile time only)
; SGPRBlocks: 4
; VGPRBlocks: 5
; NumSGPRsForWavesPerEU: 37
; NumVGPRsForWavesPerEU: 46
; AccumOffset: 48
; Occupancy: 8
; WaveLimiterHint : 0
; COMPUTE_PGM_RSRC2:SCRATCH_EN: 0
; COMPUTE_PGM_RSRC2:USER_SGPR: 2
; COMPUTE_PGM_RSRC2:TRAP_HANDLER: 0
; COMPUTE_PGM_RSRC2:TGID_X_EN: 1
; COMPUTE_PGM_RSRC2:TGID_Y_EN: 0
; COMPUTE_PGM_RSRC2:TGID_Z_EN: 0
; COMPUTE_PGM_RSRC2:TIDIG_COMP_CNT: 0
; COMPUTE_PGM_RSRC3_GFX90A:ACCUM_OFFSET: 11
; COMPUTE_PGM_RSRC3_GFX90A:TG_SPLIT: 0
	.section	.text._Z6kernelI14inclusive_scanILN6hipcub18BlockScanAlgorithmE0EEN15benchmark_utils11custom_typeIddEELj256ELj8ELj100EEvPKT0_PS7_S7_,"axG",@progbits,_Z6kernelI14inclusive_scanILN6hipcub18BlockScanAlgorithmE0EEN15benchmark_utils11custom_typeIddEELj256ELj8ELj100EEvPKT0_PS7_S7_,comdat
	.protected	_Z6kernelI14inclusive_scanILN6hipcub18BlockScanAlgorithmE0EEN15benchmark_utils11custom_typeIddEELj256ELj8ELj100EEvPKT0_PS7_S7_ ; -- Begin function _Z6kernelI14inclusive_scanILN6hipcub18BlockScanAlgorithmE0EEN15benchmark_utils11custom_typeIddEELj256ELj8ELj100EEvPKT0_PS7_S7_
	.globl	_Z6kernelI14inclusive_scanILN6hipcub18BlockScanAlgorithmE0EEN15benchmark_utils11custom_typeIddEELj256ELj8ELj100EEvPKT0_PS7_S7_
	.p2align	8
	.type	_Z6kernelI14inclusive_scanILN6hipcub18BlockScanAlgorithmE0EEN15benchmark_utils11custom_typeIddEELj256ELj8ELj100EEvPKT0_PS7_S7_,@function
_Z6kernelI14inclusive_scanILN6hipcub18BlockScanAlgorithmE0EEN15benchmark_utils11custom_typeIddEELj256ELj8ELj100EEvPKT0_PS7_S7_: ; @_Z6kernelI14inclusive_scanILN6hipcub18BlockScanAlgorithmE0EEN15benchmark_utils11custom_typeIddEELj256ELj8ELj100EEvPKT0_PS7_S7_
; %bb.0:
	s_load_dwordx4 s[24:27], s[0:1], 0x0
	s_load_dword s3, s[0:1], 0x2c
	v_mov_b32_e32 v71, 0
	v_mbcnt_lo_u32_b32 v1, -1, 0
	v_mbcnt_hi_u32_b32 v1, -1, v1
	s_waitcnt lgkmcnt(0)
	v_mov_b32_e32 v2, s24
	s_and_b32 s0, s3, 0xffff
	s_mul_i32 s2, s2, s0
	v_mov_b32_e32 v3, s25
	v_add_lshl_u32 v70, s2, v0, 3
	v_lshl_add_u64 v[18:19], v[70:71], 4, v[2:3]
	global_load_dwordx4 v[14:17], v[18:19], off offset:48
	global_load_dwordx4 v[30:33], v[18:19], off offset:32
	;; [unrolled: 1-line block ×3, first 2 shown]
	global_load_dwordx4 v[2:5], v[18:19], off
	global_load_dwordx4 v[6:9], v[18:19], off offset:112
	global_load_dwordx4 v[10:13], v[18:19], off offset:96
	;; [unrolled: 1-line block ×4, first 2 shown]
	v_and_b32_e32 v18, 15, v1
	v_cmp_ne_u32_e32 vcc, 0, v18
	v_cmp_lt_u32_e64 s[0:1], 1, v18
	v_cmp_lt_u32_e64 s[2:3], 3, v18
	;; [unrolled: 1-line block ×3, first 2 shown]
	v_and_b32_e32 v18, 16, v1
	v_cmp_ne_u32_e64 s[6:7], 0, v18
	v_or_b32_e32 v18, 63, v0
	v_cmp_eq_u32_e64 s[10:11], v18, v0
	v_add_u32_e32 v18, -1, v1
	v_and_b32_e32 v19, 64, v1
	v_cmp_lt_i32_e64 s[16:17], v18, v19
	v_cmp_gt_u32_e64 s[12:13], 4, v0
	v_cmp_lt_u32_e64 s[14:15], 63, v0
	v_cndmask_b32_e64 v18, v18, v1, s[16:17]
	v_lshlrev_b32_e32 v74, 2, v18
	v_lshrrev_b32_e32 v18, 2, v0
	v_cmp_ne_u32_e64 s[16:17], 0, v0
	v_and_b32_e32 v75, 48, v18
	v_lshlrev_b32_e32 v76, 4, v0
	v_and_b32_e32 v0, 3, v1
	v_cmp_lt_u32_e64 s[8:9], 31, v1
	v_cmp_ne_u32_e64 s[18:19], 0, v0
	v_cmp_lt_u32_e64 s[20:21], 1, v0
	v_add_u32_e32 v77, -16, v75
	v_cmp_eq_u32_e64 s[22:23], 0, v1
	s_movk_i32 s30, 0x64
.LBB107_1:                              ; =>This Inner Loop Header: Depth=1
	s_waitcnt vmcnt(4)
	v_add_f64 v[20:21], v[40:41], v[4:5]
	v_add_f64 v[18:19], v[38:39], v[2:3]
	;; [unrolled: 1-line block ×6, first 2 shown]
	s_waitcnt vmcnt(0)
	v_add_f64 v[48:49], v[36:37], v[44:45]
	v_add_f64 v[46:47], v[34:35], v[42:43]
	;; [unrolled: 1-line block ×8, first 2 shown]
	s_waitcnt lgkmcnt(0)
	v_mov_b64_e32 v[64:65], v[60:61]
	v_mov_b32_dpp v72, v60 row_shr:1 row_mask:0xf bank_mask:0xf
	v_mov_b32_dpp v0, v58 row_shr:1 row_mask:0xf bank_mask:0xf
	;; [unrolled: 1-line block ×4, first 2 shown]
	v_mov_b32_e32 v69, v61
	v_mov_b32_e32 v68, v60
	;; [unrolled: 1-line block ×4, first 2 shown]
	v_mov_b64_e32 v[62:63], v[58:59]
	s_and_saveexec_b64 s[24:25], vcc
; %bb.2:                                ;   in Loop: Header=BB107_1 Depth=1
	v_add_f64 v[66:67], v[58:59], v[0:1]
	v_add_f64 v[68:69], v[60:61], v[72:73]
	v_mov_b64_e32 v[62:63], v[66:67]
	v_mov_b64_e32 v[64:65], v[68:69]
; %bb.3:                                ;   in Loop: Header=BB107_1 Depth=1
	s_or_b64 exec, exec, s[24:25]
	v_mov_b32_dpp v0, v66 row_shr:2 row_mask:0xf bank_mask:0xf
	v_mov_b32_dpp v1, v67 row_shr:2 row_mask:0xf bank_mask:0xf
	v_mov_b32_dpp v72, v68 row_shr:2 row_mask:0xf bank_mask:0xf
	v_mov_b32_dpp v73, v69 row_shr:2 row_mask:0xf bank_mask:0xf
	s_and_saveexec_b64 s[24:25], s[0:1]
; %bb.4:                                ;   in Loop: Header=BB107_1 Depth=1
	v_add_f64 v[68:69], v[64:65], v[72:73]
	v_add_f64 v[66:67], v[62:63], v[0:1]
	v_mov_b64_e32 v[62:63], v[66:67]
	v_mov_b64_e32 v[64:65], v[68:69]
; %bb.5:                                ;   in Loop: Header=BB107_1 Depth=1
	s_or_b64 exec, exec, s[24:25]
	v_mov_b32_dpp v0, v66 row_shr:4 row_mask:0xf bank_mask:0xf
	v_mov_b32_dpp v1, v67 row_shr:4 row_mask:0xf bank_mask:0xf
	v_mov_b32_dpp v72, v68 row_shr:4 row_mask:0xf bank_mask:0xf
	v_mov_b32_dpp v73, v69 row_shr:4 row_mask:0xf bank_mask:0xf
	s_and_saveexec_b64 s[24:25], s[2:3]
	;; [unrolled: 12-line block ×3, first 2 shown]
; %bb.8:                                ;   in Loop: Header=BB107_1 Depth=1
	v_add_f64 v[68:69], v[64:65], v[72:73]
	v_add_f64 v[66:67], v[62:63], v[0:1]
	v_mov_b64_e32 v[62:63], v[66:67]
	v_mov_b64_e32 v[64:65], v[68:69]
; %bb.9:                                ;   in Loop: Header=BB107_1 Depth=1
	s_or_b64 exec, exec, s[24:25]
	v_mov_b32_dpp v0, v66 row_bcast:15 row_mask:0xf bank_mask:0xf
	v_mov_b32_dpp v1, v67 row_bcast:15 row_mask:0xf bank_mask:0xf
	;; [unrolled: 1-line block ×4, first 2 shown]
	s_and_saveexec_b64 s[24:25], s[6:7]
; %bb.10:                               ;   in Loop: Header=BB107_1 Depth=1
	v_add_f64 v[64:65], v[64:65], v[72:73]
	v_add_f64 v[62:63], v[62:63], v[0:1]
	v_mov_b32_e32 v69, v65
	v_mov_b32_e32 v68, v64
	;; [unrolled: 1-line block ×4, first 2 shown]
; %bb.11:                               ;   in Loop: Header=BB107_1 Depth=1
	s_or_b64 exec, exec, s[24:25]
	s_nop 0
	v_mov_b32_dpp v0, v66 row_bcast:31 row_mask:0xf bank_mask:0xf
	v_mov_b32_dpp v1, v67 row_bcast:31 row_mask:0xf bank_mask:0xf
	;; [unrolled: 1-line block ×4, first 2 shown]
	s_and_saveexec_b64 s[24:25], s[8:9]
; %bb.12:                               ;   in Loop: Header=BB107_1 Depth=1
	v_add_f64 v[64:65], v[64:65], v[66:67]
	v_add_f64 v[62:63], v[62:63], v[0:1]
; %bb.13:                               ;   in Loop: Header=BB107_1 Depth=1
	s_or_b64 exec, exec, s[24:25]
	s_and_saveexec_b64 s[24:25], s[10:11]
	s_cbranch_execz .LBB107_15
; %bb.14:                               ;   in Loop: Header=BB107_1 Depth=1
	ds_write2_b64 v75, v[62:63], v[64:65] offset1:1
.LBB107_15:                             ;   in Loop: Header=BB107_1 Depth=1
	s_or_b64 exec, exec, s[24:25]
	s_waitcnt lgkmcnt(0)
	s_barrier
	s_and_saveexec_b64 s[24:25], s[12:13]
	s_cbranch_execz .LBB107_21
; %bb.16:                               ;   in Loop: Header=BB107_1 Depth=1
	ds_read2_b64 v[66:69], v76 offset1:1
	s_waitcnt lgkmcnt(0)
	s_nop 0
	v_mov_b32_dpp v0, v66 row_shr:1 row_mask:0xf bank_mask:0xf
	v_mov_b32_dpp v1, v67 row_shr:1 row_mask:0xf bank_mask:0xf
	;; [unrolled: 1-line block ×4, first 2 shown]
	s_and_saveexec_b64 s[28:29], s[18:19]
; %bb.17:                               ;   in Loop: Header=BB107_1 Depth=1
	v_add_f64 v[68:69], v[68:69], v[72:73]
	v_add_f64 v[66:67], v[66:67], v[0:1]
; %bb.18:                               ;   in Loop: Header=BB107_1 Depth=1
	s_or_b64 exec, exec, s[28:29]
	s_nop 0
	v_mov_b32_dpp v0, v66 row_shr:2 row_mask:0xf bank_mask:0xf
	v_mov_b32_dpp v1, v67 row_shr:2 row_mask:0xf bank_mask:0xf
	;; [unrolled: 1-line block ×4, first 2 shown]
	s_and_saveexec_b64 s[28:29], s[20:21]
; %bb.19:                               ;   in Loop: Header=BB107_1 Depth=1
	v_add_f64 v[68:69], v[68:69], v[72:73]
	v_add_f64 v[66:67], v[66:67], v[0:1]
; %bb.20:                               ;   in Loop: Header=BB107_1 Depth=1
	s_or_b64 exec, exec, s[28:29]
	ds_write2_b64 v76, v[66:67], v[68:69] offset1:1
.LBB107_21:                             ;   in Loop: Header=BB107_1 Depth=1
	s_or_b64 exec, exec, s[24:25]
	v_mov_b64_e32 v[66:67], 0
	v_mov_b64_e32 v[68:69], v[66:67]
	s_waitcnt lgkmcnt(0)
	s_barrier
	s_and_saveexec_b64 s[24:25], s[14:15]
	s_cbranch_execz .LBB107_23
; %bb.22:                               ;   in Loop: Header=BB107_1 Depth=1
	ds_read2_b64 v[66:69], v77 offset1:1
	s_waitcnt lgkmcnt(0)
	v_add_f64 v[62:63], v[62:63], v[66:67]
	v_add_f64 v[64:65], v[64:65], v[68:69]
.LBB107_23:                             ;   in Loop: Header=BB107_1 Depth=1
	s_or_b64 exec, exec, s[24:25]
	ds_bpermute_b32 v1, v74, v62
	ds_bpermute_b32 v63, v74, v63
	ds_bpermute_b32 v0, v74, v64
	ds_bpermute_b32 v62, v74, v65
	s_and_saveexec_b64 s[24:25], s[16:17]
	s_cbranch_execz .LBB107_25
; %bb.24:                               ;   in Loop: Header=BB107_1 Depth=1
	s_waitcnt lgkmcnt(2)
	v_cndmask_b32_e64 v19, v63, v67, s[22:23]
	v_cndmask_b32_e64 v18, v1, v66, s[22:23]
	s_waitcnt lgkmcnt(0)
	v_cndmask_b32_e64 v1, v62, v69, s[22:23]
	v_cndmask_b32_e64 v0, v0, v68, s[22:23]
	v_add_f64 v[4:5], v[4:5], v[0:1]
	v_add_f64 v[2:3], v[2:3], v[18:19]
	;; [unrolled: 1-line block ×16, first 2 shown]
.LBB107_25:                             ;   in Loop: Header=BB107_1 Depth=1
	s_or_b64 exec, exec, s[24:25]
	s_add_i32 s30, s30, -1
	s_cmp_lg_u32 s30, 0
	s_cbranch_scc0 .LBB107_27
; %bb.26:                               ;   in Loop: Header=BB107_1 Depth=1
	v_mov_b64_e32 v[6:7], v[58:59]
	v_mov_b64_e32 v[10:11], v[54:55]
	;; [unrolled: 1-line block ×14, first 2 shown]
	s_branch .LBB107_1
.LBB107_27:
	s_waitcnt lgkmcnt(1)
	v_mov_b32_e32 v0, s26
	v_mov_b32_e32 v1, s27
	v_lshl_add_u64 v[0:1], v[70:71], 4, v[0:1]
	global_store_dwordx4 v[0:1], v[2:5], off
	global_store_dwordx4 v[0:1], v[18:21], off offset:16
	global_store_dwordx4 v[0:1], v[26:29], off offset:32
	global_store_dwordx4 v[0:1], v[42:45], off offset:48
	global_store_dwordx4 v[0:1], v[46:49], off offset:64
	global_store_dwordx4 v[0:1], v[50:53], off offset:80
	global_store_dwordx4 v[0:1], v[54:57], off offset:96
	global_store_dwordx4 v[0:1], v[58:61], off offset:112
	s_endpgm
	.section	.rodata,"a",@progbits
	.p2align	6, 0x0
	.amdhsa_kernel _Z6kernelI14inclusive_scanILN6hipcub18BlockScanAlgorithmE0EEN15benchmark_utils11custom_typeIddEELj256ELj8ELj100EEvPKT0_PS7_S7_
		.amdhsa_group_segment_fixed_size 64
		.amdhsa_private_segment_fixed_size 0
		.amdhsa_kernarg_size 288
		.amdhsa_user_sgpr_count 2
		.amdhsa_user_sgpr_dispatch_ptr 0
		.amdhsa_user_sgpr_queue_ptr 0
		.amdhsa_user_sgpr_kernarg_segment_ptr 1
		.amdhsa_user_sgpr_dispatch_id 0
		.amdhsa_user_sgpr_kernarg_preload_length 0
		.amdhsa_user_sgpr_kernarg_preload_offset 0
		.amdhsa_user_sgpr_private_segment_size 0
		.amdhsa_uses_dynamic_stack 0
		.amdhsa_enable_private_segment 0
		.amdhsa_system_sgpr_workgroup_id_x 1
		.amdhsa_system_sgpr_workgroup_id_y 0
		.amdhsa_system_sgpr_workgroup_id_z 0
		.amdhsa_system_sgpr_workgroup_info 0
		.amdhsa_system_vgpr_workitem_id 0
		.amdhsa_next_free_vgpr 78
		.amdhsa_next_free_sgpr 31
		.amdhsa_accum_offset 80
		.amdhsa_reserve_vcc 1
		.amdhsa_float_round_mode_32 0
		.amdhsa_float_round_mode_16_64 0
		.amdhsa_float_denorm_mode_32 3
		.amdhsa_float_denorm_mode_16_64 3
		.amdhsa_dx10_clamp 1
		.amdhsa_ieee_mode 1
		.amdhsa_fp16_overflow 0
		.amdhsa_tg_split 0
		.amdhsa_exception_fp_ieee_invalid_op 0
		.amdhsa_exception_fp_denorm_src 0
		.amdhsa_exception_fp_ieee_div_zero 0
		.amdhsa_exception_fp_ieee_overflow 0
		.amdhsa_exception_fp_ieee_underflow 0
		.amdhsa_exception_fp_ieee_inexact 0
		.amdhsa_exception_int_div_zero 0
	.end_amdhsa_kernel
	.section	.text._Z6kernelI14inclusive_scanILN6hipcub18BlockScanAlgorithmE0EEN15benchmark_utils11custom_typeIddEELj256ELj8ELj100EEvPKT0_PS7_S7_,"axG",@progbits,_Z6kernelI14inclusive_scanILN6hipcub18BlockScanAlgorithmE0EEN15benchmark_utils11custom_typeIddEELj256ELj8ELj100EEvPKT0_PS7_S7_,comdat
.Lfunc_end107:
	.size	_Z6kernelI14inclusive_scanILN6hipcub18BlockScanAlgorithmE0EEN15benchmark_utils11custom_typeIddEELj256ELj8ELj100EEvPKT0_PS7_S7_, .Lfunc_end107-_Z6kernelI14inclusive_scanILN6hipcub18BlockScanAlgorithmE0EEN15benchmark_utils11custom_typeIddEELj256ELj8ELj100EEvPKT0_PS7_S7_
                                        ; -- End function
	.section	.AMDGPU.csdata,"",@progbits
; Kernel info:
; codeLenInByte = 1448
; NumSgprs: 37
; NumVgprs: 78
; NumAgprs: 0
; TotalNumVgprs: 78
; ScratchSize: 0
; MemoryBound: 0
; FloatMode: 240
; IeeeMode: 1
; LDSByteSize: 64 bytes/workgroup (compile time only)
; SGPRBlocks: 4
; VGPRBlocks: 9
; NumSGPRsForWavesPerEU: 37
; NumVGPRsForWavesPerEU: 78
; AccumOffset: 80
; Occupancy: 6
; WaveLimiterHint : 0
; COMPUTE_PGM_RSRC2:SCRATCH_EN: 0
; COMPUTE_PGM_RSRC2:USER_SGPR: 2
; COMPUTE_PGM_RSRC2:TRAP_HANDLER: 0
; COMPUTE_PGM_RSRC2:TGID_X_EN: 1
; COMPUTE_PGM_RSRC2:TGID_Y_EN: 0
; COMPUTE_PGM_RSRC2:TGID_Z_EN: 0
; COMPUTE_PGM_RSRC2:TIDIG_COMP_CNT: 0
; COMPUTE_PGM_RSRC3_GFX90A:ACCUM_OFFSET: 19
; COMPUTE_PGM_RSRC3_GFX90A:TG_SPLIT: 0
	.section	.text._Z6kernelI14exclusive_scanILN6hipcub18BlockScanAlgorithmE1EEiLj64ELj1ELj100EEvPKT0_PS4_S4_,"axG",@progbits,_Z6kernelI14exclusive_scanILN6hipcub18BlockScanAlgorithmE1EEiLj64ELj1ELj100EEvPKT0_PS4_S4_,comdat
	.protected	_Z6kernelI14exclusive_scanILN6hipcub18BlockScanAlgorithmE1EEiLj64ELj1ELj100EEvPKT0_PS4_S4_ ; -- Begin function _Z6kernelI14exclusive_scanILN6hipcub18BlockScanAlgorithmE1EEiLj64ELj1ELj100EEvPKT0_PS4_S4_
	.globl	_Z6kernelI14exclusive_scanILN6hipcub18BlockScanAlgorithmE1EEiLj64ELj1ELj100EEvPKT0_PS4_S4_
	.p2align	8
	.type	_Z6kernelI14exclusive_scanILN6hipcub18BlockScanAlgorithmE1EEiLj64ELj1ELj100EEvPKT0_PS4_S4_,@function
_Z6kernelI14exclusive_scanILN6hipcub18BlockScanAlgorithmE1EEiLj64ELj1ELj100EEvPKT0_PS4_S4_: ; @_Z6kernelI14exclusive_scanILN6hipcub18BlockScanAlgorithmE1EEiLj64ELj1ELj100EEvPKT0_PS4_S4_
; %bb.0:
	s_load_dwordx4 s[12:15], s[0:1], 0x0
	s_load_dword s3, s[0:1], 0x24
	s_load_dword s18, s[0:1], 0x10
	v_mov_b32_e32 v3, 0
	v_mbcnt_lo_u32_b32 v1, -1, 0
	s_waitcnt lgkmcnt(0)
	v_mov_b32_e32 v4, s12
	s_and_b32 s0, s3, 0xffff
	s_mul_i32 s2, s2, s0
	v_mov_b32_e32 v5, s13
	v_add_u32_e32 v2, s2, v0
	v_lshl_add_u64 v[4:5], v[2:3], 2, v[4:5]
	global_load_dword v4, v[4:5], off
	v_mbcnt_hi_u32_b32 v1, -1, v1
	v_and_b32_e32 v5, 15, v1
	v_cmp_eq_u32_e32 vcc, 0, v5
	v_cmp_lt_u32_e64 s[0:1], 1, v5
	v_cmp_lt_u32_e64 s[2:3], 3, v5
	;; [unrolled: 1-line block ×3, first 2 shown]
	v_and_b32_e32 v5, 16, v1
	v_cmp_eq_u32_e64 s[6:7], 0, v5
	v_cmp_eq_u32_e64 s[10:11], 63, v0
	v_add_u32_e32 v0, -1, v1
	v_and_b32_e32 v5, 64, v1
	v_cmp_lt_i32_e64 s[12:13], v0, v5
	v_cmp_lt_u32_e64 s[8:9], 31, v1
	s_movk_i32 s19, 0x64
	v_cndmask_b32_e64 v0, v0, v1, s[12:13]
	v_lshlrev_b32_e32 v0, 2, v0
	v_cmp_eq_u32_e64 s[12:13], 0, v1
	v_mov_b32_e32 v1, s18
	s_branch .LBB108_2
.LBB108_1:                              ;   in Loop: Header=BB108_2 Depth=1
	s_or_b64 exec, exec, s[16:17]
	v_add_u32_e32 v4, s18, v4
	ds_bpermute_b32 v4, v0, v4
	s_add_i32 s19, s19, -1
	s_cmp_lg_u32 s19, 0
	s_waitcnt lgkmcnt(0)
	; wave barrier
	s_waitcnt lgkmcnt(0)
	v_cndmask_b32_e64 v4, v4, v1, s[12:13]
	s_cbranch_scc0 .LBB108_4
.LBB108_2:                              ; =>This Inner Loop Header: Depth=1
	s_waitcnt vmcnt(0)
	v_mov_b32_dpp v5, v4 row_shr:1 row_mask:0xf bank_mask:0xf
	v_cndmask_b32_e64 v5, v5, 0, vcc
	v_add_u32_e32 v4, v5, v4
	s_nop 1
	v_mov_b32_dpp v5, v4 row_shr:2 row_mask:0xf bank_mask:0xf
	v_cndmask_b32_e64 v5, 0, v5, s[0:1]
	v_add_u32_e32 v4, v4, v5
	s_nop 1
	v_mov_b32_dpp v5, v4 row_shr:4 row_mask:0xf bank_mask:0xf
	v_cndmask_b32_e64 v5, 0, v5, s[2:3]
	;; [unrolled: 4-line block ×3, first 2 shown]
	v_add_u32_e32 v4, v4, v5
	s_nop 1
	v_mov_b32_dpp v5, v4 row_bcast:15 row_mask:0xf bank_mask:0xf
	v_cndmask_b32_e64 v5, v5, 0, s[6:7]
	v_add_u32_e32 v4, v4, v5
	s_nop 1
	v_mov_b32_dpp v5, v4 row_bcast:31 row_mask:0xf bank_mask:0xf
	v_cndmask_b32_e64 v5, 0, v5, s[8:9]
	v_add_u32_e32 v4, v4, v5
	s_and_saveexec_b64 s[16:17], s[10:11]
	s_cbranch_execz .LBB108_1
; %bb.3:                                ;   in Loop: Header=BB108_2 Depth=1
	ds_write_b32 v3, v4
	s_branch .LBB108_1
.LBB108_4:
	v_mov_b32_e32 v0, s14
	v_mov_b32_e32 v1, s15
	v_lshl_add_u64 v[0:1], v[2:3], 2, v[0:1]
	global_store_dword v[0:1], v4, off
	s_endpgm
	.section	.rodata,"a",@progbits
	.p2align	6, 0x0
	.amdhsa_kernel _Z6kernelI14exclusive_scanILN6hipcub18BlockScanAlgorithmE1EEiLj64ELj1ELj100EEvPKT0_PS4_S4_
		.amdhsa_group_segment_fixed_size 4
		.amdhsa_private_segment_fixed_size 0
		.amdhsa_kernarg_size 280
		.amdhsa_user_sgpr_count 2
		.amdhsa_user_sgpr_dispatch_ptr 0
		.amdhsa_user_sgpr_queue_ptr 0
		.amdhsa_user_sgpr_kernarg_segment_ptr 1
		.amdhsa_user_sgpr_dispatch_id 0
		.amdhsa_user_sgpr_kernarg_preload_length 0
		.amdhsa_user_sgpr_kernarg_preload_offset 0
		.amdhsa_user_sgpr_private_segment_size 0
		.amdhsa_uses_dynamic_stack 0
		.amdhsa_enable_private_segment 0
		.amdhsa_system_sgpr_workgroup_id_x 1
		.amdhsa_system_sgpr_workgroup_id_y 0
		.amdhsa_system_sgpr_workgroup_id_z 0
		.amdhsa_system_sgpr_workgroup_info 0
		.amdhsa_system_vgpr_workitem_id 0
		.amdhsa_next_free_vgpr 6
		.amdhsa_next_free_sgpr 20
		.amdhsa_accum_offset 8
		.amdhsa_reserve_vcc 1
		.amdhsa_float_round_mode_32 0
		.amdhsa_float_round_mode_16_64 0
		.amdhsa_float_denorm_mode_32 3
		.amdhsa_float_denorm_mode_16_64 3
		.amdhsa_dx10_clamp 1
		.amdhsa_ieee_mode 1
		.amdhsa_fp16_overflow 0
		.amdhsa_tg_split 0
		.amdhsa_exception_fp_ieee_invalid_op 0
		.amdhsa_exception_fp_denorm_src 0
		.amdhsa_exception_fp_ieee_div_zero 0
		.amdhsa_exception_fp_ieee_overflow 0
		.amdhsa_exception_fp_ieee_underflow 0
		.amdhsa_exception_fp_ieee_inexact 0
		.amdhsa_exception_int_div_zero 0
	.end_amdhsa_kernel
	.section	.text._Z6kernelI14exclusive_scanILN6hipcub18BlockScanAlgorithmE1EEiLj64ELj1ELj100EEvPKT0_PS4_S4_,"axG",@progbits,_Z6kernelI14exclusive_scanILN6hipcub18BlockScanAlgorithmE1EEiLj64ELj1ELj100EEvPKT0_PS4_S4_,comdat
.Lfunc_end108:
	.size	_Z6kernelI14exclusive_scanILN6hipcub18BlockScanAlgorithmE1EEiLj64ELj1ELj100EEvPKT0_PS4_S4_, .Lfunc_end108-_Z6kernelI14exclusive_scanILN6hipcub18BlockScanAlgorithmE1EEiLj64ELj1ELj100EEvPKT0_PS4_S4_
                                        ; -- End function
	.section	.AMDGPU.csdata,"",@progbits
; Kernel info:
; codeLenInByte = 432
; NumSgprs: 26
; NumVgprs: 6
; NumAgprs: 0
; TotalNumVgprs: 6
; ScratchSize: 0
; MemoryBound: 0
; FloatMode: 240
; IeeeMode: 1
; LDSByteSize: 4 bytes/workgroup (compile time only)
; SGPRBlocks: 3
; VGPRBlocks: 0
; NumSGPRsForWavesPerEU: 26
; NumVGPRsForWavesPerEU: 6
; AccumOffset: 8
; Occupancy: 8
; WaveLimiterHint : 0
; COMPUTE_PGM_RSRC2:SCRATCH_EN: 0
; COMPUTE_PGM_RSRC2:USER_SGPR: 2
; COMPUTE_PGM_RSRC2:TRAP_HANDLER: 0
; COMPUTE_PGM_RSRC2:TGID_X_EN: 1
; COMPUTE_PGM_RSRC2:TGID_Y_EN: 0
; COMPUTE_PGM_RSRC2:TGID_Z_EN: 0
; COMPUTE_PGM_RSRC2:TIDIG_COMP_CNT: 0
; COMPUTE_PGM_RSRC3_GFX90A:ACCUM_OFFSET: 1
; COMPUTE_PGM_RSRC3_GFX90A:TG_SPLIT: 0
	.section	.text._Z6kernelI14exclusive_scanILN6hipcub18BlockScanAlgorithmE1EEiLj64ELj3ELj100EEvPKT0_PS4_S4_,"axG",@progbits,_Z6kernelI14exclusive_scanILN6hipcub18BlockScanAlgorithmE1EEiLj64ELj3ELj100EEvPKT0_PS4_S4_,comdat
	.protected	_Z6kernelI14exclusive_scanILN6hipcub18BlockScanAlgorithmE1EEiLj64ELj3ELj100EEvPKT0_PS4_S4_ ; -- Begin function _Z6kernelI14exclusive_scanILN6hipcub18BlockScanAlgorithmE1EEiLj64ELj3ELj100EEvPKT0_PS4_S4_
	.globl	_Z6kernelI14exclusive_scanILN6hipcub18BlockScanAlgorithmE1EEiLj64ELj3ELj100EEvPKT0_PS4_S4_
	.p2align	8
	.type	_Z6kernelI14exclusive_scanILN6hipcub18BlockScanAlgorithmE1EEiLj64ELj3ELj100EEvPKT0_PS4_S4_,@function
_Z6kernelI14exclusive_scanILN6hipcub18BlockScanAlgorithmE1EEiLj64ELj3ELj100EEvPKT0_PS4_S4_: ; @_Z6kernelI14exclusive_scanILN6hipcub18BlockScanAlgorithmE1EEiLj64ELj3ELj100EEvPKT0_PS4_S4_
; %bb.0:
	s_load_dword s3, s[0:1], 0x24
	s_load_dwordx4 s[16:19], s[0:1], 0x0
	s_load_dword s20, s[0:1], 0x10
	v_mov_b32_e32 v3, 0
	v_mov_b32_e32 v5, v3
	s_waitcnt lgkmcnt(0)
	s_and_b32 s0, s3, 0xffff
	s_mul_i32 s2, s2, s0
	v_add_u32_e32 v1, s2, v0
	v_lshl_add_u32 v2, v1, 1, v1
	v_lshl_add_u64 v[12:13], v[2:3], 2, s[16:17]
	v_add_u32_e32 v4, 1, v2
	v_add_u32_e32 v6, 2, v2
	v_mov_b32_e32 v7, v3
	v_lshl_add_u64 v[14:15], v[4:5], 2, s[16:17]
	v_lshl_add_u64 v[16:17], v[6:7], 2, s[16:17]
	global_load_dword v1, v[12:13], off
	global_load_dword v8, v[14:15], off
	;; [unrolled: 1-line block ×3, first 2 shown]
	v_mbcnt_lo_u32_b32 v9, -1, 0
	v_mbcnt_hi_u32_b32 v11, -1, v9
	v_and_b32_e32 v9, 15, v11
	v_cmp_eq_u32_e32 vcc, 0, v9
	v_cmp_lt_u32_e64 s[0:1], 1, v9
	v_cmp_lt_u32_e64 s[2:3], 3, v9
	;; [unrolled: 1-line block ×3, first 2 shown]
	v_and_b32_e32 v9, 16, v11
	v_cmp_eq_u32_e64 s[6:7], 0, v9
	v_add_u32_e32 v9, -1, v11
	v_and_b32_e32 v12, 64, v11
	v_cmp_lt_i32_e64 s[12:13], v9, v12
	v_cmp_eq_u32_e64 s[14:15], 0, v0
	v_cmp_lt_u32_e64 s[8:9], 31, v11
	v_cndmask_b32_e64 v9, v9, v11, s[12:13]
	v_cmp_eq_u32_e64 s[12:13], 0, v11
	v_cmp_eq_u32_e64 s[10:11], 63, v0
	v_lshlrev_b32_e32 v9, 2, v9
	s_or_b64 s[12:13], s[14:15], s[12:13]
	s_movk_i32 s16, 0x64
	v_mov_b32_e32 v0, s20
.LBB109_1:                              ; =>This Inner Loop Header: Depth=1
	s_waitcnt vmcnt(0)
	v_add3_u32 v10, v8, v1, v10
	s_nop 1
	v_mov_b32_dpp v11, v10 row_shr:1 row_mask:0xf bank_mask:0xf
	v_cndmask_b32_e64 v11, v11, 0, vcc
	v_add_u32_e32 v10, v10, v11
	s_nop 1
	v_mov_b32_dpp v11, v10 row_shr:2 row_mask:0xf bank_mask:0xf
	v_cndmask_b32_e64 v11, 0, v11, s[0:1]
	v_add_u32_e32 v10, v10, v11
	s_nop 1
	v_mov_b32_dpp v11, v10 row_shr:4 row_mask:0xf bank_mask:0xf
	v_cndmask_b32_e64 v11, 0, v11, s[2:3]
	;; [unrolled: 4-line block ×3, first 2 shown]
	v_add_u32_e32 v10, v10, v11
	s_nop 1
	v_mov_b32_dpp v11, v10 row_bcast:15 row_mask:0xf bank_mask:0xf
	v_cndmask_b32_e64 v11, v11, 0, s[6:7]
	v_add_u32_e32 v10, v10, v11
	s_nop 1
	v_mov_b32_dpp v11, v10 row_bcast:31 row_mask:0xf bank_mask:0xf
	v_cndmask_b32_e64 v11, 0, v11, s[8:9]
	v_add_u32_e32 v10, v10, v11
	s_and_saveexec_b64 s[14:15], s[10:11]
	s_cbranch_execz .LBB109_3
; %bb.2:                                ;   in Loop: Header=BB109_1 Depth=1
	ds_write_b32 v3, v10
.LBB109_3:                              ;   in Loop: Header=BB109_1 Depth=1
	s_or_b64 exec, exec, s[14:15]
	v_add_u32_e32 v10, s20, v10
	ds_bpermute_b32 v10, v9, v10
	s_add_i32 s16, s16, -1
	s_cmp_lg_u32 s16, 0
	s_waitcnt lgkmcnt(0)
	; wave barrier
	s_waitcnt lgkmcnt(0)
	v_cndmask_b32_e64 v12, v10, v0, s[12:13]
	v_add_u32_e32 v11, v12, v1
	v_add_u32_e32 v10, v11, v8
	s_cbranch_scc0 .LBB109_5
; %bb.4:                                ;   in Loop: Header=BB109_1 Depth=1
	v_mov_b32_e32 v1, v12
	v_mov_b32_e32 v8, v11
	s_branch .LBB109_1
.LBB109_5:
	v_lshl_add_u64 v[0:1], v[2:3], 2, s[18:19]
	global_store_dword v[0:1], v12, off
	v_lshl_add_u64 v[0:1], v[4:5], 2, s[18:19]
	global_store_dword v[0:1], v11, off
	;; [unrolled: 2-line block ×3, first 2 shown]
	s_endpgm
	.section	.rodata,"a",@progbits
	.p2align	6, 0x0
	.amdhsa_kernel _Z6kernelI14exclusive_scanILN6hipcub18BlockScanAlgorithmE1EEiLj64ELj3ELj100EEvPKT0_PS4_S4_
		.amdhsa_group_segment_fixed_size 4
		.amdhsa_private_segment_fixed_size 0
		.amdhsa_kernarg_size 280
		.amdhsa_user_sgpr_count 2
		.amdhsa_user_sgpr_dispatch_ptr 0
		.amdhsa_user_sgpr_queue_ptr 0
		.amdhsa_user_sgpr_kernarg_segment_ptr 1
		.amdhsa_user_sgpr_dispatch_id 0
		.amdhsa_user_sgpr_kernarg_preload_length 0
		.amdhsa_user_sgpr_kernarg_preload_offset 0
		.amdhsa_user_sgpr_private_segment_size 0
		.amdhsa_uses_dynamic_stack 0
		.amdhsa_enable_private_segment 0
		.amdhsa_system_sgpr_workgroup_id_x 1
		.amdhsa_system_sgpr_workgroup_id_y 0
		.amdhsa_system_sgpr_workgroup_id_z 0
		.amdhsa_system_sgpr_workgroup_info 0
		.amdhsa_system_vgpr_workitem_id 0
		.amdhsa_next_free_vgpr 18
		.amdhsa_next_free_sgpr 21
		.amdhsa_accum_offset 20
		.amdhsa_reserve_vcc 1
		.amdhsa_float_round_mode_32 0
		.amdhsa_float_round_mode_16_64 0
		.amdhsa_float_denorm_mode_32 3
		.amdhsa_float_denorm_mode_16_64 3
		.amdhsa_dx10_clamp 1
		.amdhsa_ieee_mode 1
		.amdhsa_fp16_overflow 0
		.amdhsa_tg_split 0
		.amdhsa_exception_fp_ieee_invalid_op 0
		.amdhsa_exception_fp_denorm_src 0
		.amdhsa_exception_fp_ieee_div_zero 0
		.amdhsa_exception_fp_ieee_overflow 0
		.amdhsa_exception_fp_ieee_underflow 0
		.amdhsa_exception_fp_ieee_inexact 0
		.amdhsa_exception_int_div_zero 0
	.end_amdhsa_kernel
	.section	.text._Z6kernelI14exclusive_scanILN6hipcub18BlockScanAlgorithmE1EEiLj64ELj3ELj100EEvPKT0_PS4_S4_,"axG",@progbits,_Z6kernelI14exclusive_scanILN6hipcub18BlockScanAlgorithmE1EEiLj64ELj3ELj100EEvPKT0_PS4_S4_,comdat
.Lfunc_end109:
	.size	_Z6kernelI14exclusive_scanILN6hipcub18BlockScanAlgorithmE1EEiLj64ELj3ELj100EEvPKT0_PS4_S4_, .Lfunc_end109-_Z6kernelI14exclusive_scanILN6hipcub18BlockScanAlgorithmE1EEiLj64ELj3ELj100EEvPKT0_PS4_S4_
                                        ; -- End function
	.section	.AMDGPU.csdata,"",@progbits
; Kernel info:
; codeLenInByte = 540
; NumSgprs: 27
; NumVgprs: 18
; NumAgprs: 0
; TotalNumVgprs: 18
; ScratchSize: 0
; MemoryBound: 0
; FloatMode: 240
; IeeeMode: 1
; LDSByteSize: 4 bytes/workgroup (compile time only)
; SGPRBlocks: 3
; VGPRBlocks: 2
; NumSGPRsForWavesPerEU: 27
; NumVGPRsForWavesPerEU: 18
; AccumOffset: 20
; Occupancy: 8
; WaveLimiterHint : 0
; COMPUTE_PGM_RSRC2:SCRATCH_EN: 0
; COMPUTE_PGM_RSRC2:USER_SGPR: 2
; COMPUTE_PGM_RSRC2:TRAP_HANDLER: 0
; COMPUTE_PGM_RSRC2:TGID_X_EN: 1
; COMPUTE_PGM_RSRC2:TGID_Y_EN: 0
; COMPUTE_PGM_RSRC2:TGID_Z_EN: 0
; COMPUTE_PGM_RSRC2:TIDIG_COMP_CNT: 0
; COMPUTE_PGM_RSRC3_GFX90A:ACCUM_OFFSET: 4
; COMPUTE_PGM_RSRC3_GFX90A:TG_SPLIT: 0
	.section	.text._Z6kernelI14exclusive_scanILN6hipcub18BlockScanAlgorithmE1EEiLj64ELj4ELj100EEvPKT0_PS4_S4_,"axG",@progbits,_Z6kernelI14exclusive_scanILN6hipcub18BlockScanAlgorithmE1EEiLj64ELj4ELj100EEvPKT0_PS4_S4_,comdat
	.protected	_Z6kernelI14exclusive_scanILN6hipcub18BlockScanAlgorithmE1EEiLj64ELj4ELj100EEvPKT0_PS4_S4_ ; -- Begin function _Z6kernelI14exclusive_scanILN6hipcub18BlockScanAlgorithmE1EEiLj64ELj4ELj100EEvPKT0_PS4_S4_
	.globl	_Z6kernelI14exclusive_scanILN6hipcub18BlockScanAlgorithmE1EEiLj64ELj4ELj100EEvPKT0_PS4_S4_
	.p2align	8
	.type	_Z6kernelI14exclusive_scanILN6hipcub18BlockScanAlgorithmE1EEiLj64ELj4ELj100EEvPKT0_PS4_S4_,@function
_Z6kernelI14exclusive_scanILN6hipcub18BlockScanAlgorithmE1EEiLj64ELj4ELj100EEvPKT0_PS4_S4_: ; @_Z6kernelI14exclusive_scanILN6hipcub18BlockScanAlgorithmE1EEiLj64ELj4ELj100EEvPKT0_PS4_S4_
; %bb.0:
	s_load_dwordx4 s[16:19], s[0:1], 0x0
	s_load_dword s3, s[0:1], 0x24
	s_load_dword s20, s[0:1], 0x10
	v_mov_b32_e32 v11, 0
	v_mbcnt_lo_u32_b32 v1, -1, 0
	s_waitcnt lgkmcnt(0)
	v_mov_b32_e32 v2, s16
	s_and_b32 s0, s3, 0xffff
	s_mul_i32 s2, s2, s0
	v_mov_b32_e32 v3, s17
	v_add_lshl_u32 v10, s2, v0, 2
	v_lshl_add_u64 v[2:3], v[10:11], 2, v[2:3]
	global_load_dwordx4 v[2:5], v[2:3], off
	v_mbcnt_hi_u32_b32 v6, -1, v1
	v_and_b32_e32 v1, 15, v6
	v_cmp_eq_u32_e32 vcc, 0, v1
	v_cmp_lt_u32_e64 s[0:1], 1, v1
	v_cmp_lt_u32_e64 s[2:3], 3, v1
	;; [unrolled: 1-line block ×3, first 2 shown]
	v_and_b32_e32 v1, 16, v6
	v_cmp_eq_u32_e64 s[6:7], 0, v1
	v_add_u32_e32 v1, -1, v6
	v_and_b32_e32 v7, 64, v6
	v_cmp_lt_i32_e64 s[12:13], v1, v7
	v_cmp_eq_u32_e64 s[14:15], 0, v0
	v_cmp_lt_u32_e64 s[8:9], 31, v6
	v_cndmask_b32_e64 v1, v1, v6, s[12:13]
	v_cmp_eq_u32_e64 s[12:13], 0, v6
	v_cmp_eq_u32_e64 s[10:11], 63, v0
	v_lshlrev_b32_e32 v1, 2, v1
	s_or_b64 s[12:13], s[14:15], s[12:13]
	s_movk_i32 s16, 0x64
	v_mov_b32_e32 v0, s20
.LBB110_1:                              ; =>This Inner Loop Header: Depth=1
	s_waitcnt vmcnt(0)
	v_add_u32_e32 v6, v3, v2
	v_add3_u32 v5, v6, v4, v5
	s_nop 1
	v_mov_b32_dpp v6, v5 row_shr:1 row_mask:0xf bank_mask:0xf
	v_cndmask_b32_e64 v6, v6, 0, vcc
	v_add_u32_e32 v5, v5, v6
	s_nop 1
	v_mov_b32_dpp v6, v5 row_shr:2 row_mask:0xf bank_mask:0xf
	v_cndmask_b32_e64 v6, 0, v6, s[0:1]
	v_add_u32_e32 v5, v5, v6
	s_nop 1
	v_mov_b32_dpp v6, v5 row_shr:4 row_mask:0xf bank_mask:0xf
	v_cndmask_b32_e64 v6, 0, v6, s[2:3]
	;; [unrolled: 4-line block ×3, first 2 shown]
	v_add_u32_e32 v5, v5, v6
	s_nop 1
	v_mov_b32_dpp v6, v5 row_bcast:15 row_mask:0xf bank_mask:0xf
	v_cndmask_b32_e64 v6, v6, 0, s[6:7]
	v_add_u32_e32 v5, v5, v6
	s_nop 1
	v_mov_b32_dpp v6, v5 row_bcast:31 row_mask:0xf bank_mask:0xf
	v_cndmask_b32_e64 v6, 0, v6, s[8:9]
	v_add_u32_e32 v5, v5, v6
	s_and_saveexec_b64 s[14:15], s[10:11]
	s_cbranch_execz .LBB110_3
; %bb.2:                                ;   in Loop: Header=BB110_1 Depth=1
	ds_write_b32 v11, v5
.LBB110_3:                              ;   in Loop: Header=BB110_1 Depth=1
	s_or_b64 exec, exec, s[14:15]
	v_add_u32_e32 v5, s20, v5
	ds_bpermute_b32 v5, v1, v5
	s_add_i32 s16, s16, -1
	s_cmp_lg_u32 s16, 0
	s_waitcnt lgkmcnt(0)
	; wave barrier
	s_waitcnt lgkmcnt(0)
	v_cndmask_b32_e64 v6, v5, v0, s[12:13]
	v_add_u32_e32 v7, v6, v2
	v_add_u32_e32 v8, v7, v3
	;; [unrolled: 1-line block ×3, first 2 shown]
	s_cbranch_scc0 .LBB110_5
; %bb.4:                                ;   in Loop: Header=BB110_1 Depth=1
	v_mov_b32_e32 v2, v6
	v_mov_b32_e32 v3, v7
	;; [unrolled: 1-line block ×3, first 2 shown]
	s_branch .LBB110_1
.LBB110_5:
	v_mov_b32_e32 v0, s18
	v_mov_b32_e32 v1, s19
	v_lshl_add_u64 v[0:1], v[10:11], 2, v[0:1]
	v_mov_b32_e32 v9, v5
	global_store_dwordx4 v[0:1], v[6:9], off
	s_endpgm
	.section	.rodata,"a",@progbits
	.p2align	6, 0x0
	.amdhsa_kernel _Z6kernelI14exclusive_scanILN6hipcub18BlockScanAlgorithmE1EEiLj64ELj4ELj100EEvPKT0_PS4_S4_
		.amdhsa_group_segment_fixed_size 4
		.amdhsa_private_segment_fixed_size 0
		.amdhsa_kernarg_size 280
		.amdhsa_user_sgpr_count 2
		.amdhsa_user_sgpr_dispatch_ptr 0
		.amdhsa_user_sgpr_queue_ptr 0
		.amdhsa_user_sgpr_kernarg_segment_ptr 1
		.amdhsa_user_sgpr_dispatch_id 0
		.amdhsa_user_sgpr_kernarg_preload_length 0
		.amdhsa_user_sgpr_kernarg_preload_offset 0
		.amdhsa_user_sgpr_private_segment_size 0
		.amdhsa_uses_dynamic_stack 0
		.amdhsa_enable_private_segment 0
		.amdhsa_system_sgpr_workgroup_id_x 1
		.amdhsa_system_sgpr_workgroup_id_y 0
		.amdhsa_system_sgpr_workgroup_id_z 0
		.amdhsa_system_sgpr_workgroup_info 0
		.amdhsa_system_vgpr_workitem_id 0
		.amdhsa_next_free_vgpr 12
		.amdhsa_next_free_sgpr 21
		.amdhsa_accum_offset 12
		.amdhsa_reserve_vcc 1
		.amdhsa_float_round_mode_32 0
		.amdhsa_float_round_mode_16_64 0
		.amdhsa_float_denorm_mode_32 3
		.amdhsa_float_denorm_mode_16_64 3
		.amdhsa_dx10_clamp 1
		.amdhsa_ieee_mode 1
		.amdhsa_fp16_overflow 0
		.amdhsa_tg_split 0
		.amdhsa_exception_fp_ieee_invalid_op 0
		.amdhsa_exception_fp_denorm_src 0
		.amdhsa_exception_fp_ieee_div_zero 0
		.amdhsa_exception_fp_ieee_overflow 0
		.amdhsa_exception_fp_ieee_underflow 0
		.amdhsa_exception_fp_ieee_inexact 0
		.amdhsa_exception_int_div_zero 0
	.end_amdhsa_kernel
	.section	.text._Z6kernelI14exclusive_scanILN6hipcub18BlockScanAlgorithmE1EEiLj64ELj4ELj100EEvPKT0_PS4_S4_,"axG",@progbits,_Z6kernelI14exclusive_scanILN6hipcub18BlockScanAlgorithmE1EEiLj64ELj4ELj100EEvPKT0_PS4_S4_,comdat
.Lfunc_end110:
	.size	_Z6kernelI14exclusive_scanILN6hipcub18BlockScanAlgorithmE1EEiLj64ELj4ELj100EEvPKT0_PS4_S4_, .Lfunc_end110-_Z6kernelI14exclusive_scanILN6hipcub18BlockScanAlgorithmE1EEiLj64ELj4ELj100EEvPKT0_PS4_S4_
                                        ; -- End function
	.section	.AMDGPU.csdata,"",@progbits
; Kernel info:
; codeLenInByte = 488
; NumSgprs: 27
; NumVgprs: 12
; NumAgprs: 0
; TotalNumVgprs: 12
; ScratchSize: 0
; MemoryBound: 0
; FloatMode: 240
; IeeeMode: 1
; LDSByteSize: 4 bytes/workgroup (compile time only)
; SGPRBlocks: 3
; VGPRBlocks: 1
; NumSGPRsForWavesPerEU: 27
; NumVGPRsForWavesPerEU: 12
; AccumOffset: 12
; Occupancy: 8
; WaveLimiterHint : 0
; COMPUTE_PGM_RSRC2:SCRATCH_EN: 0
; COMPUTE_PGM_RSRC2:USER_SGPR: 2
; COMPUTE_PGM_RSRC2:TRAP_HANDLER: 0
; COMPUTE_PGM_RSRC2:TGID_X_EN: 1
; COMPUTE_PGM_RSRC2:TGID_Y_EN: 0
; COMPUTE_PGM_RSRC2:TGID_Z_EN: 0
; COMPUTE_PGM_RSRC2:TIDIG_COMP_CNT: 0
; COMPUTE_PGM_RSRC3_GFX90A:ACCUM_OFFSET: 2
; COMPUTE_PGM_RSRC3_GFX90A:TG_SPLIT: 0
	.section	.text._Z6kernelI14exclusive_scanILN6hipcub18BlockScanAlgorithmE1EEiLj64ELj8ELj100EEvPKT0_PS4_S4_,"axG",@progbits,_Z6kernelI14exclusive_scanILN6hipcub18BlockScanAlgorithmE1EEiLj64ELj8ELj100EEvPKT0_PS4_S4_,comdat
	.protected	_Z6kernelI14exclusive_scanILN6hipcub18BlockScanAlgorithmE1EEiLj64ELj8ELj100EEvPKT0_PS4_S4_ ; -- Begin function _Z6kernelI14exclusive_scanILN6hipcub18BlockScanAlgorithmE1EEiLj64ELj8ELj100EEvPKT0_PS4_S4_
	.globl	_Z6kernelI14exclusive_scanILN6hipcub18BlockScanAlgorithmE1EEiLj64ELj8ELj100EEvPKT0_PS4_S4_
	.p2align	8
	.type	_Z6kernelI14exclusive_scanILN6hipcub18BlockScanAlgorithmE1EEiLj64ELj8ELj100EEvPKT0_PS4_S4_,@function
_Z6kernelI14exclusive_scanILN6hipcub18BlockScanAlgorithmE1EEiLj64ELj8ELj100EEvPKT0_PS4_S4_: ; @_Z6kernelI14exclusive_scanILN6hipcub18BlockScanAlgorithmE1EEiLj64ELj8ELj100EEvPKT0_PS4_S4_
; %bb.0:
	s_load_dwordx4 s[16:19], s[0:1], 0x0
	s_load_dword s3, s[0:1], 0x24
	s_load_dword s20, s[0:1], 0x10
	v_mov_b32_e32 v19, 0
	v_mbcnt_lo_u32_b32 v1, -1, 0
	s_waitcnt lgkmcnt(0)
	v_mov_b32_e32 v2, s16
	s_and_b32 s0, s3, 0xffff
	s_mul_i32 s2, s2, s0
	v_mov_b32_e32 v3, s17
	v_add_lshl_u32 v18, s2, v0, 3
	v_lshl_add_u64 v[10:11], v[18:19], 2, v[2:3]
	global_load_dwordx4 v[6:9], v[10:11], off
	global_load_dwordx4 v[2:5], v[10:11], off offset:16
	v_mbcnt_hi_u32_b32 v10, -1, v1
	v_and_b32_e32 v1, 15, v10
	v_cmp_eq_u32_e32 vcc, 0, v1
	v_cmp_lt_u32_e64 s[0:1], 1, v1
	v_cmp_lt_u32_e64 s[2:3], 3, v1
	;; [unrolled: 1-line block ×3, first 2 shown]
	v_and_b32_e32 v1, 16, v10
	v_cmp_eq_u32_e64 s[6:7], 0, v1
	v_add_u32_e32 v1, -1, v10
	v_and_b32_e32 v11, 64, v10
	v_cmp_lt_i32_e64 s[12:13], v1, v11
	v_cmp_eq_u32_e64 s[14:15], 0, v0
	v_cmp_lt_u32_e64 s[8:9], 31, v10
	v_cndmask_b32_e64 v1, v1, v10, s[12:13]
	v_cmp_eq_u32_e64 s[12:13], 0, v10
	v_cmp_eq_u32_e64 s[10:11], 63, v0
	v_lshlrev_b32_e32 v1, 2, v1
	s_or_b64 s[12:13], s[14:15], s[12:13]
	s_movk_i32 s16, 0x64
	v_mov_b32_e32 v0, s20
.LBB111_1:                              ; =>This Inner Loop Header: Depth=1
	s_waitcnt vmcnt(1)
	v_add_u32_e32 v10, v7, v6
	v_add3_u32 v10, v10, v8, v9
	s_waitcnt vmcnt(0)
	v_add3_u32 v10, v10, v2, v3
	v_add3_u32 v5, v10, v4, v5
	s_nop 1
	v_mov_b32_dpp v10, v5 row_shr:1 row_mask:0xf bank_mask:0xf
	v_cndmask_b32_e64 v10, v10, 0, vcc
	v_add_u32_e32 v5, v5, v10
	s_nop 1
	v_mov_b32_dpp v10, v5 row_shr:2 row_mask:0xf bank_mask:0xf
	v_cndmask_b32_e64 v10, 0, v10, s[0:1]
	v_add_u32_e32 v5, v5, v10
	s_nop 1
	v_mov_b32_dpp v10, v5 row_shr:4 row_mask:0xf bank_mask:0xf
	v_cndmask_b32_e64 v10, 0, v10, s[2:3]
	;; [unrolled: 4-line block ×3, first 2 shown]
	v_add_u32_e32 v5, v5, v10
	s_nop 1
	v_mov_b32_dpp v10, v5 row_bcast:15 row_mask:0xf bank_mask:0xf
	v_cndmask_b32_e64 v10, v10, 0, s[6:7]
	v_add_u32_e32 v5, v5, v10
	s_nop 1
	v_mov_b32_dpp v10, v5 row_bcast:31 row_mask:0xf bank_mask:0xf
	v_cndmask_b32_e64 v10, 0, v10, s[8:9]
	v_add_u32_e32 v5, v5, v10
	s_and_saveexec_b64 s[14:15], s[10:11]
	s_cbranch_execz .LBB111_3
; %bb.2:                                ;   in Loop: Header=BB111_1 Depth=1
	ds_write_b32 v19, v5
.LBB111_3:                              ;   in Loop: Header=BB111_1 Depth=1
	s_or_b64 exec, exec, s[14:15]
	v_add_u32_e32 v5, s20, v5
	ds_bpermute_b32 v5, v1, v5
	s_add_i32 s16, s16, -1
	s_cmp_lg_u32 s16, 0
	s_waitcnt lgkmcnt(0)
	; wave barrier
	s_waitcnt lgkmcnt(0)
	v_cndmask_b32_e64 v14, v5, v0, s[12:13]
	v_add_u32_e32 v15, v14, v6
	v_add_u32_e32 v16, v15, v7
	;; [unrolled: 1-line block ×7, first 2 shown]
	s_cbranch_scc0 .LBB111_5
; %bb.4:                                ;   in Loop: Header=BB111_1 Depth=1
	v_mov_b32_e32 v6, v14
	v_mov_b32_e32 v7, v15
	v_mov_b32_e32 v8, v16
	v_mov_b32_e32 v9, v10
	v_mov_b32_e32 v2, v11
	v_mov_b32_e32 v3, v12
	v_mov_b32_e32 v4, v13
	s_branch .LBB111_1
.LBB111_5:
	v_mov_b32_e32 v0, s18
	v_mov_b32_e32 v1, s19
	v_lshl_add_u64 v[0:1], v[18:19], 2, v[0:1]
	global_store_dwordx3 v[0:1], v[14:16], off
	global_store_dwordx4 v[0:1], v[10:13], off offset:12
	global_store_dword v[0:1], v5, off offset:28
	s_endpgm
	.section	.rodata,"a",@progbits
	.p2align	6, 0x0
	.amdhsa_kernel _Z6kernelI14exclusive_scanILN6hipcub18BlockScanAlgorithmE1EEiLj64ELj8ELj100EEvPKT0_PS4_S4_
		.amdhsa_group_segment_fixed_size 4
		.amdhsa_private_segment_fixed_size 0
		.amdhsa_kernarg_size 280
		.amdhsa_user_sgpr_count 2
		.amdhsa_user_sgpr_dispatch_ptr 0
		.amdhsa_user_sgpr_queue_ptr 0
		.amdhsa_user_sgpr_kernarg_segment_ptr 1
		.amdhsa_user_sgpr_dispatch_id 0
		.amdhsa_user_sgpr_kernarg_preload_length 0
		.amdhsa_user_sgpr_kernarg_preload_offset 0
		.amdhsa_user_sgpr_private_segment_size 0
		.amdhsa_uses_dynamic_stack 0
		.amdhsa_enable_private_segment 0
		.amdhsa_system_sgpr_workgroup_id_x 1
		.amdhsa_system_sgpr_workgroup_id_y 0
		.amdhsa_system_sgpr_workgroup_id_z 0
		.amdhsa_system_sgpr_workgroup_info 0
		.amdhsa_system_vgpr_workitem_id 0
		.amdhsa_next_free_vgpr 20
		.amdhsa_next_free_sgpr 21
		.amdhsa_accum_offset 20
		.amdhsa_reserve_vcc 1
		.amdhsa_float_round_mode_32 0
		.amdhsa_float_round_mode_16_64 0
		.amdhsa_float_denorm_mode_32 3
		.amdhsa_float_denorm_mode_16_64 3
		.amdhsa_dx10_clamp 1
		.amdhsa_ieee_mode 1
		.amdhsa_fp16_overflow 0
		.amdhsa_tg_split 0
		.amdhsa_exception_fp_ieee_invalid_op 0
		.amdhsa_exception_fp_denorm_src 0
		.amdhsa_exception_fp_ieee_div_zero 0
		.amdhsa_exception_fp_ieee_overflow 0
		.amdhsa_exception_fp_ieee_underflow 0
		.amdhsa_exception_fp_ieee_inexact 0
		.amdhsa_exception_int_div_zero 0
	.end_amdhsa_kernel
	.section	.text._Z6kernelI14exclusive_scanILN6hipcub18BlockScanAlgorithmE1EEiLj64ELj8ELj100EEvPKT0_PS4_S4_,"axG",@progbits,_Z6kernelI14exclusive_scanILN6hipcub18BlockScanAlgorithmE1EEiLj64ELj8ELj100EEvPKT0_PS4_S4_,comdat
.Lfunc_end111:
	.size	_Z6kernelI14exclusive_scanILN6hipcub18BlockScanAlgorithmE1EEiLj64ELj8ELj100EEvPKT0_PS4_S4_, .Lfunc_end111-_Z6kernelI14exclusive_scanILN6hipcub18BlockScanAlgorithmE1EEiLj64ELj8ELj100EEvPKT0_PS4_S4_
                                        ; -- End function
	.section	.AMDGPU.csdata,"",@progbits
; Kernel info:
; codeLenInByte = 560
; NumSgprs: 27
; NumVgprs: 20
; NumAgprs: 0
; TotalNumVgprs: 20
; ScratchSize: 0
; MemoryBound: 0
; FloatMode: 240
; IeeeMode: 1
; LDSByteSize: 4 bytes/workgroup (compile time only)
; SGPRBlocks: 3
; VGPRBlocks: 2
; NumSGPRsForWavesPerEU: 27
; NumVGPRsForWavesPerEU: 20
; AccumOffset: 20
; Occupancy: 8
; WaveLimiterHint : 0
; COMPUTE_PGM_RSRC2:SCRATCH_EN: 0
; COMPUTE_PGM_RSRC2:USER_SGPR: 2
; COMPUTE_PGM_RSRC2:TRAP_HANDLER: 0
; COMPUTE_PGM_RSRC2:TGID_X_EN: 1
; COMPUTE_PGM_RSRC2:TGID_Y_EN: 0
; COMPUTE_PGM_RSRC2:TGID_Z_EN: 0
; COMPUTE_PGM_RSRC2:TIDIG_COMP_CNT: 0
; COMPUTE_PGM_RSRC3_GFX90A:ACCUM_OFFSET: 4
; COMPUTE_PGM_RSRC3_GFX90A:TG_SPLIT: 0
	.section	.text._Z6kernelI14exclusive_scanILN6hipcub18BlockScanAlgorithmE1EEiLj64ELj11ELj100EEvPKT0_PS4_S4_,"axG",@progbits,_Z6kernelI14exclusive_scanILN6hipcub18BlockScanAlgorithmE1EEiLj64ELj11ELj100EEvPKT0_PS4_S4_,comdat
	.protected	_Z6kernelI14exclusive_scanILN6hipcub18BlockScanAlgorithmE1EEiLj64ELj11ELj100EEvPKT0_PS4_S4_ ; -- Begin function _Z6kernelI14exclusive_scanILN6hipcub18BlockScanAlgorithmE1EEiLj64ELj11ELj100EEvPKT0_PS4_S4_
	.globl	_Z6kernelI14exclusive_scanILN6hipcub18BlockScanAlgorithmE1EEiLj64ELj11ELj100EEvPKT0_PS4_S4_
	.p2align	8
	.type	_Z6kernelI14exclusive_scanILN6hipcub18BlockScanAlgorithmE1EEiLj64ELj11ELj100EEvPKT0_PS4_S4_,@function
_Z6kernelI14exclusive_scanILN6hipcub18BlockScanAlgorithmE1EEiLj64ELj11ELj100EEvPKT0_PS4_S4_: ; @_Z6kernelI14exclusive_scanILN6hipcub18BlockScanAlgorithmE1EEiLj64ELj11ELj100EEvPKT0_PS4_S4_
; %bb.0:
	s_load_dword s3, s[0:1], 0x24
	s_load_dwordx4 s[16:19], s[0:1], 0x0
	s_load_dword s20, s[0:1], 0x10
	v_mov_b32_e32 v3, 0
	v_mov_b32_e32 v5, v3
	s_waitcnt lgkmcnt(0)
	s_and_b32 s0, s3, 0xffff
	s_mul_i32 s2, s2, s0
	v_add_u32_e32 v1, s2, v0
	v_mul_lo_u32 v2, v1, 11
	v_lshl_add_u64 v[18:19], v[2:3], 2, s[16:17]
	v_add_u32_e32 v4, 1, v2
	v_add_u32_e32 v6, 2, v2
	v_mov_b32_e32 v7, v3
	v_add_u32_e32 v8, 3, v2
	v_mov_b32_e32 v9, v3
	;; [unrolled: 2-line block ×6, first 2 shown]
	v_lshl_add_u64 v[20:21], v[4:5], 2, s[16:17]
	v_lshl_add_u64 v[22:23], v[6:7], 2, s[16:17]
	;; [unrolled: 1-line block ×7, first 2 shown]
	global_load_dword v30, v[18:19], off
	global_load_dword v29, v[20:21], off
	;; [unrolled: 1-line block ×8, first 2 shown]
	v_add_u32_e32 v18, 8, v2
	v_mov_b32_e32 v19, v3
	v_lshl_add_u64 v[36:37], v[18:19], 2, s[16:17]
	v_add_u32_e32 v20, 9, v2
	v_mov_b32_e32 v21, v3
	v_add_u32_e32 v22, 10, v2
	v_mov_b32_e32 v23, v3
	v_lshl_add_u64 v[38:39], v[20:21], 2, s[16:17]
	v_lshl_add_u64 v[40:41], v[22:23], 2, s[16:17]
	global_load_dword v32, v[36:37], off
	global_load_dword v31, v[38:39], off
	;; [unrolled: 1-line block ×3, first 2 shown]
	v_mbcnt_lo_u32_b32 v33, -1, 0
	v_mbcnt_hi_u32_b32 v35, -1, v33
	v_and_b32_e32 v33, 15, v35
	v_cmp_eq_u32_e32 vcc, 0, v33
	v_cmp_lt_u32_e64 s[0:1], 1, v33
	v_cmp_lt_u32_e64 s[2:3], 3, v33
	;; [unrolled: 1-line block ×3, first 2 shown]
	v_and_b32_e32 v33, 16, v35
	v_cmp_eq_u32_e64 s[6:7], 0, v33
	v_add_u32_e32 v33, -1, v35
	v_and_b32_e32 v36, 64, v35
	v_cmp_lt_i32_e64 s[12:13], v33, v36
	v_cmp_eq_u32_e64 s[14:15], 0, v0
	v_cmp_lt_u32_e64 s[8:9], 31, v35
	v_cndmask_b32_e64 v33, v33, v35, s[12:13]
	v_cmp_eq_u32_e64 s[12:13], 0, v35
	v_cmp_eq_u32_e64 s[10:11], 63, v0
	v_lshlrev_b32_e32 v33, 2, v33
	s_or_b64 s[12:13], s[14:15], s[12:13]
	s_movk_i32 s16, 0x64
	v_mov_b32_e32 v0, s20
.LBB112_1:                              ; =>This Inner Loop Header: Depth=1
	s_waitcnt vmcnt(0)
	v_add3_u32 v34, v31, v34, v32
	v_add3_u32 v34, v34, v1, v24
	;; [unrolled: 1-line block ×5, first 2 shown]
	s_nop 1
	v_mov_b32_dpp v35, v34 row_shr:1 row_mask:0xf bank_mask:0xf
	v_cndmask_b32_e64 v35, v35, 0, vcc
	v_add_u32_e32 v34, v34, v35
	s_nop 1
	v_mov_b32_dpp v35, v34 row_shr:2 row_mask:0xf bank_mask:0xf
	v_cndmask_b32_e64 v35, 0, v35, s[0:1]
	v_add_u32_e32 v34, v34, v35
	s_nop 1
	v_mov_b32_dpp v35, v34 row_shr:4 row_mask:0xf bank_mask:0xf
	v_cndmask_b32_e64 v35, 0, v35, s[2:3]
	;; [unrolled: 4-line block ×3, first 2 shown]
	v_add_u32_e32 v34, v34, v35
	s_nop 1
	v_mov_b32_dpp v35, v34 row_bcast:15 row_mask:0xf bank_mask:0xf
	v_cndmask_b32_e64 v35, v35, 0, s[6:7]
	v_add_u32_e32 v34, v34, v35
	s_nop 1
	v_mov_b32_dpp v35, v34 row_bcast:31 row_mask:0xf bank_mask:0xf
	v_cndmask_b32_e64 v35, 0, v35, s[8:9]
	v_add_u32_e32 v34, v34, v35
	s_and_saveexec_b64 s[14:15], s[10:11]
	s_cbranch_execz .LBB112_3
; %bb.2:                                ;   in Loop: Header=BB112_1 Depth=1
	ds_write_b32 v3, v34
.LBB112_3:                              ;   in Loop: Header=BB112_1 Depth=1
	s_or_b64 exec, exec, s[14:15]
	v_add_u32_e32 v34, s20, v34
	ds_bpermute_b32 v34, v33, v34
	s_add_i32 s16, s16, -1
	s_cmp_lg_u32 s16, 0
	s_waitcnt lgkmcnt(0)
	; wave barrier
	s_waitcnt lgkmcnt(0)
	v_cndmask_b32_e64 v35, v34, v0, s[12:13]
	v_add_u32_e32 v30, v35, v30
	v_add_u32_e32 v29, v30, v29
	;; [unrolled: 1-line block ×10, first 2 shown]
	s_cbranch_scc0 .LBB112_5
; %bb.4:                                ;   in Loop: Header=BB112_1 Depth=1
	v_mov_b32_e32 v31, v32
	v_mov_b32_e32 v32, v1
	v_mov_b32_e32 v1, v24
	v_mov_b32_e32 v24, v25
	v_mov_b32_e32 v25, v26
	v_mov_b32_e32 v26, v27
	v_mov_b32_e32 v27, v28
	v_mov_b32_e32 v28, v29
	v_mov_b32_e32 v29, v30
	v_mov_b32_e32 v30, v35
	s_branch .LBB112_1
.LBB112_5:
	v_lshl_add_u64 v[2:3], v[2:3], 2, s[18:19]
	global_store_dword v[2:3], v35, off
	v_lshl_add_u64 v[2:3], v[4:5], 2, s[18:19]
	global_store_dword v[2:3], v30, off
	;; [unrolled: 2-line block ×11, first 2 shown]
	s_endpgm
	.section	.rodata,"a",@progbits
	.p2align	6, 0x0
	.amdhsa_kernel _Z6kernelI14exclusive_scanILN6hipcub18BlockScanAlgorithmE1EEiLj64ELj11ELj100EEvPKT0_PS4_S4_
		.amdhsa_group_segment_fixed_size 4
		.amdhsa_private_segment_fixed_size 0
		.amdhsa_kernarg_size 280
		.amdhsa_user_sgpr_count 2
		.amdhsa_user_sgpr_dispatch_ptr 0
		.amdhsa_user_sgpr_queue_ptr 0
		.amdhsa_user_sgpr_kernarg_segment_ptr 1
		.amdhsa_user_sgpr_dispatch_id 0
		.amdhsa_user_sgpr_kernarg_preload_length 0
		.amdhsa_user_sgpr_kernarg_preload_offset 0
		.amdhsa_user_sgpr_private_segment_size 0
		.amdhsa_uses_dynamic_stack 0
		.amdhsa_enable_private_segment 0
		.amdhsa_system_sgpr_workgroup_id_x 1
		.amdhsa_system_sgpr_workgroup_id_y 0
		.amdhsa_system_sgpr_workgroup_id_z 0
		.amdhsa_system_sgpr_workgroup_info 0
		.amdhsa_system_vgpr_workitem_id 0
		.amdhsa_next_free_vgpr 42
		.amdhsa_next_free_sgpr 21
		.amdhsa_accum_offset 44
		.amdhsa_reserve_vcc 1
		.amdhsa_float_round_mode_32 0
		.amdhsa_float_round_mode_16_64 0
		.amdhsa_float_denorm_mode_32 3
		.amdhsa_float_denorm_mode_16_64 3
		.amdhsa_dx10_clamp 1
		.amdhsa_ieee_mode 1
		.amdhsa_fp16_overflow 0
		.amdhsa_tg_split 0
		.amdhsa_exception_fp_ieee_invalid_op 0
		.amdhsa_exception_fp_denorm_src 0
		.amdhsa_exception_fp_ieee_div_zero 0
		.amdhsa_exception_fp_ieee_overflow 0
		.amdhsa_exception_fp_ieee_underflow 0
		.amdhsa_exception_fp_ieee_inexact 0
		.amdhsa_exception_int_div_zero 0
	.end_amdhsa_kernel
	.section	.text._Z6kernelI14exclusive_scanILN6hipcub18BlockScanAlgorithmE1EEiLj64ELj11ELj100EEvPKT0_PS4_S4_,"axG",@progbits,_Z6kernelI14exclusive_scanILN6hipcub18BlockScanAlgorithmE1EEiLj64ELj11ELj100EEvPKT0_PS4_S4_,comdat
.Lfunc_end112:
	.size	_Z6kernelI14exclusive_scanILN6hipcub18BlockScanAlgorithmE1EEiLj64ELj11ELj100EEvPKT0_PS4_S4_, .Lfunc_end112-_Z6kernelI14exclusive_scanILN6hipcub18BlockScanAlgorithmE1EEiLj64ELj11ELj100EEvPKT0_PS4_S4_
                                        ; -- End function
	.section	.AMDGPU.csdata,"",@progbits
; Kernel info:
; codeLenInByte = 956
; NumSgprs: 27
; NumVgprs: 42
; NumAgprs: 0
; TotalNumVgprs: 42
; ScratchSize: 0
; MemoryBound: 0
; FloatMode: 240
; IeeeMode: 1
; LDSByteSize: 4 bytes/workgroup (compile time only)
; SGPRBlocks: 3
; VGPRBlocks: 5
; NumSGPRsForWavesPerEU: 27
; NumVGPRsForWavesPerEU: 42
; AccumOffset: 44
; Occupancy: 8
; WaveLimiterHint : 0
; COMPUTE_PGM_RSRC2:SCRATCH_EN: 0
; COMPUTE_PGM_RSRC2:USER_SGPR: 2
; COMPUTE_PGM_RSRC2:TRAP_HANDLER: 0
; COMPUTE_PGM_RSRC2:TGID_X_EN: 1
; COMPUTE_PGM_RSRC2:TGID_Y_EN: 0
; COMPUTE_PGM_RSRC2:TGID_Z_EN: 0
; COMPUTE_PGM_RSRC2:TIDIG_COMP_CNT: 0
; COMPUTE_PGM_RSRC3_GFX90A:ACCUM_OFFSET: 10
; COMPUTE_PGM_RSRC3_GFX90A:TG_SPLIT: 0
	.section	.text._Z6kernelI14exclusive_scanILN6hipcub18BlockScanAlgorithmE1EEiLj64ELj16ELj100EEvPKT0_PS4_S4_,"axG",@progbits,_Z6kernelI14exclusive_scanILN6hipcub18BlockScanAlgorithmE1EEiLj64ELj16ELj100EEvPKT0_PS4_S4_,comdat
	.protected	_Z6kernelI14exclusive_scanILN6hipcub18BlockScanAlgorithmE1EEiLj64ELj16ELj100EEvPKT0_PS4_S4_ ; -- Begin function _Z6kernelI14exclusive_scanILN6hipcub18BlockScanAlgorithmE1EEiLj64ELj16ELj100EEvPKT0_PS4_S4_
	.globl	_Z6kernelI14exclusive_scanILN6hipcub18BlockScanAlgorithmE1EEiLj64ELj16ELj100EEvPKT0_PS4_S4_
	.p2align	8
	.type	_Z6kernelI14exclusive_scanILN6hipcub18BlockScanAlgorithmE1EEiLj64ELj16ELj100EEvPKT0_PS4_S4_,@function
_Z6kernelI14exclusive_scanILN6hipcub18BlockScanAlgorithmE1EEiLj64ELj16ELj100EEvPKT0_PS4_S4_: ; @_Z6kernelI14exclusive_scanILN6hipcub18BlockScanAlgorithmE1EEiLj64ELj16ELj100EEvPKT0_PS4_S4_
; %bb.0:
	s_load_dwordx4 s[16:19], s[0:1], 0x0
	s_load_dword s3, s[0:1], 0x24
	s_load_dword s20, s[0:1], 0x10
	v_mov_b32_e32 v27, 0
	v_mbcnt_lo_u32_b32 v1, -1, 0
	s_waitcnt lgkmcnt(0)
	v_mov_b32_e32 v2, s16
	s_and_b32 s0, s3, 0xffff
	s_mul_i32 s2, s2, s0
	v_mov_b32_e32 v3, s17
	v_add_lshl_u32 v26, s2, v0, 4
	v_lshl_add_u64 v[18:19], v[26:27], 2, v[2:3]
	global_load_dwordx4 v[2:5], v[18:19], off offset:48
	global_load_dwordx4 v[6:9], v[18:19], off offset:32
	global_load_dwordx4 v[10:13], v[18:19], off
	global_load_dwordx4 v[14:17], v[18:19], off offset:16
	v_mbcnt_hi_u32_b32 v1, -1, v1
	v_and_b32_e32 v18, 15, v1
	v_cmp_eq_u32_e32 vcc, 0, v18
	v_cmp_lt_u32_e64 s[0:1], 1, v18
	v_cmp_lt_u32_e64 s[2:3], 3, v18
	;; [unrolled: 1-line block ×3, first 2 shown]
	v_and_b32_e32 v18, 16, v1
	v_cmp_eq_u32_e64 s[6:7], 0, v18
	v_add_u32_e32 v18, -1, v1
	v_and_b32_e32 v19, 64, v1
	v_cmp_lt_i32_e64 s[12:13], v18, v19
	v_cmp_eq_u32_e64 s[14:15], 0, v0
	v_cmp_lt_u32_e64 s[8:9], 31, v1
	v_cndmask_b32_e64 v18, v18, v1, s[12:13]
	v_cmp_eq_u32_e64 s[12:13], 0, v1
	v_cmp_eq_u32_e64 s[10:11], 63, v0
	v_lshlrev_b32_e32 v28, 2, v18
	s_or_b64 s[12:13], s[14:15], s[12:13]
	s_movk_i32 s16, 0x64
.LBB113_1:                              ; =>This Inner Loop Header: Depth=1
	s_waitcnt vmcnt(3)
	v_add_u32_e32 v0, v4, v5
	v_add3_u32 v0, v0, v3, v2
	s_waitcnt vmcnt(2)
	v_add3_u32 v0, v0, v9, v8
	v_add3_u32 v0, v0, v7, v6
	s_waitcnt vmcnt(0)
	v_add3_u32 v0, v0, v17, v16
	v_add3_u32 v0, v0, v15, v14
	;; [unrolled: 1-line block ×4, first 2 shown]
	s_nop 1
	v_mov_b32_dpp v1, v0 row_shr:1 row_mask:0xf bank_mask:0xf
	v_cndmask_b32_e64 v1, v1, 0, vcc
	v_add_u32_e32 v0, v0, v1
	s_nop 1
	v_mov_b32_dpp v1, v0 row_shr:2 row_mask:0xf bank_mask:0xf
	v_cndmask_b32_e64 v1, 0, v1, s[0:1]
	v_add_u32_e32 v0, v0, v1
	s_nop 1
	v_mov_b32_dpp v1, v0 row_shr:4 row_mask:0xf bank_mask:0xf
	v_cndmask_b32_e64 v1, 0, v1, s[2:3]
	;; [unrolled: 4-line block ×3, first 2 shown]
	v_add_u32_e32 v0, v0, v1
	s_nop 1
	v_mov_b32_dpp v1, v0 row_bcast:15 row_mask:0xf bank_mask:0xf
	v_cndmask_b32_e64 v1, v1, 0, s[6:7]
	v_add_u32_e32 v0, v0, v1
	s_nop 1
	v_mov_b32_dpp v1, v0 row_bcast:31 row_mask:0xf bank_mask:0xf
	v_cndmask_b32_e64 v1, 0, v1, s[8:9]
	v_add_u32_e32 v0, v0, v1
	s_and_saveexec_b64 s[14:15], s[10:11]
	s_cbranch_execz .LBB113_3
; %bb.2:                                ;   in Loop: Header=BB113_1 Depth=1
	ds_write_b32 v27, v0
.LBB113_3:                              ;   in Loop: Header=BB113_1 Depth=1
	s_or_b64 exec, exec, s[14:15]
	v_add_u32_e32 v0, s20, v0
	ds_bpermute_b32 v0, v28, v0
	v_mov_b32_e32 v1, s20
	s_add_i32 s16, s16, -1
	s_cmp_lg_u32 s16, 0
	s_waitcnt lgkmcnt(0)
	v_cndmask_b32_e64 v18, v0, v1, s[12:13]
	v_add_u32_e32 v19, v18, v10
	v_add_u32_e32 v20, v19, v11
	;; [unrolled: 1-line block ×15, first 2 shown]
	; wave barrier
	s_cbranch_scc0 .LBB113_5
; %bb.4:                                ;   in Loop: Header=BB113_1 Depth=1
	v_mov_b32_e32 v11, v19
	v_mov_b32_e32 v10, v18
	;; [unrolled: 1-line block ×15, first 2 shown]
	s_branch .LBB113_1
.LBB113_5:
	v_mov_b32_e32 v6, s18
	v_mov_b32_e32 v7, s19
	v_lshl_add_u64 v[6:7], v[26:27], 2, v[6:7]
	v_mov_b32_e32 v3, v5
	global_store_dwordx4 v[6:7], v[18:21], off
	global_store_dwordx4 v[6:7], v[12:15], off offset:16
	global_store_dwordx4 v[6:7], v[22:25], off offset:32
	;; [unrolled: 1-line block ×3, first 2 shown]
	s_endpgm
	.section	.rodata,"a",@progbits
	.p2align	6, 0x0
	.amdhsa_kernel _Z6kernelI14exclusive_scanILN6hipcub18BlockScanAlgorithmE1EEiLj64ELj16ELj100EEvPKT0_PS4_S4_
		.amdhsa_group_segment_fixed_size 4
		.amdhsa_private_segment_fixed_size 0
		.amdhsa_kernarg_size 280
		.amdhsa_user_sgpr_count 2
		.amdhsa_user_sgpr_dispatch_ptr 0
		.amdhsa_user_sgpr_queue_ptr 0
		.amdhsa_user_sgpr_kernarg_segment_ptr 1
		.amdhsa_user_sgpr_dispatch_id 0
		.amdhsa_user_sgpr_kernarg_preload_length 0
		.amdhsa_user_sgpr_kernarg_preload_offset 0
		.amdhsa_user_sgpr_private_segment_size 0
		.amdhsa_uses_dynamic_stack 0
		.amdhsa_enable_private_segment 0
		.amdhsa_system_sgpr_workgroup_id_x 1
		.amdhsa_system_sgpr_workgroup_id_y 0
		.amdhsa_system_sgpr_workgroup_id_z 0
		.amdhsa_system_sgpr_workgroup_info 0
		.amdhsa_system_vgpr_workitem_id 0
		.amdhsa_next_free_vgpr 29
		.amdhsa_next_free_sgpr 21
		.amdhsa_accum_offset 32
		.amdhsa_reserve_vcc 1
		.amdhsa_float_round_mode_32 0
		.amdhsa_float_round_mode_16_64 0
		.amdhsa_float_denorm_mode_32 3
		.amdhsa_float_denorm_mode_16_64 3
		.amdhsa_dx10_clamp 1
		.amdhsa_ieee_mode 1
		.amdhsa_fp16_overflow 0
		.amdhsa_tg_split 0
		.amdhsa_exception_fp_ieee_invalid_op 0
		.amdhsa_exception_fp_denorm_src 0
		.amdhsa_exception_fp_ieee_div_zero 0
		.amdhsa_exception_fp_ieee_overflow 0
		.amdhsa_exception_fp_ieee_underflow 0
		.amdhsa_exception_fp_ieee_inexact 0
		.amdhsa_exception_int_div_zero 0
	.end_amdhsa_kernel
	.section	.text._Z6kernelI14exclusive_scanILN6hipcub18BlockScanAlgorithmE1EEiLj64ELj16ELj100EEvPKT0_PS4_S4_,"axG",@progbits,_Z6kernelI14exclusive_scanILN6hipcub18BlockScanAlgorithmE1EEiLj64ELj16ELj100EEvPKT0_PS4_S4_,comdat
.Lfunc_end113:
	.size	_Z6kernelI14exclusive_scanILN6hipcub18BlockScanAlgorithmE1EEiLj64ELj16ELj100EEvPKT0_PS4_S4_, .Lfunc_end113-_Z6kernelI14exclusive_scanILN6hipcub18BlockScanAlgorithmE1EEiLj64ELj16ELj100EEvPKT0_PS4_S4_
                                        ; -- End function
	.section	.AMDGPU.csdata,"",@progbits
; Kernel info:
; codeLenInByte = 684
; NumSgprs: 27
; NumVgprs: 29
; NumAgprs: 0
; TotalNumVgprs: 29
; ScratchSize: 0
; MemoryBound: 0
; FloatMode: 240
; IeeeMode: 1
; LDSByteSize: 4 bytes/workgroup (compile time only)
; SGPRBlocks: 3
; VGPRBlocks: 3
; NumSGPRsForWavesPerEU: 27
; NumVGPRsForWavesPerEU: 29
; AccumOffset: 32
; Occupancy: 8
; WaveLimiterHint : 0
; COMPUTE_PGM_RSRC2:SCRATCH_EN: 0
; COMPUTE_PGM_RSRC2:USER_SGPR: 2
; COMPUTE_PGM_RSRC2:TRAP_HANDLER: 0
; COMPUTE_PGM_RSRC2:TGID_X_EN: 1
; COMPUTE_PGM_RSRC2:TGID_Y_EN: 0
; COMPUTE_PGM_RSRC2:TGID_Z_EN: 0
; COMPUTE_PGM_RSRC2:TIDIG_COMP_CNT: 0
; COMPUTE_PGM_RSRC3_GFX90A:ACCUM_OFFSET: 7
; COMPUTE_PGM_RSRC3_GFX90A:TG_SPLIT: 0
	.section	.text._Z6kernelI14exclusive_scanILN6hipcub18BlockScanAlgorithmE1EEfLj64ELj1ELj100EEvPKT0_PS4_S4_,"axG",@progbits,_Z6kernelI14exclusive_scanILN6hipcub18BlockScanAlgorithmE1EEfLj64ELj1ELj100EEvPKT0_PS4_S4_,comdat
	.protected	_Z6kernelI14exclusive_scanILN6hipcub18BlockScanAlgorithmE1EEfLj64ELj1ELj100EEvPKT0_PS4_S4_ ; -- Begin function _Z6kernelI14exclusive_scanILN6hipcub18BlockScanAlgorithmE1EEfLj64ELj1ELj100EEvPKT0_PS4_S4_
	.globl	_Z6kernelI14exclusive_scanILN6hipcub18BlockScanAlgorithmE1EEfLj64ELj1ELj100EEvPKT0_PS4_S4_
	.p2align	8
	.type	_Z6kernelI14exclusive_scanILN6hipcub18BlockScanAlgorithmE1EEfLj64ELj1ELj100EEvPKT0_PS4_S4_,@function
_Z6kernelI14exclusive_scanILN6hipcub18BlockScanAlgorithmE1EEfLj64ELj1ELj100EEvPKT0_PS4_S4_: ; @_Z6kernelI14exclusive_scanILN6hipcub18BlockScanAlgorithmE1EEfLj64ELj1ELj100EEvPKT0_PS4_S4_
; %bb.0:
	s_load_dwordx4 s[12:15], s[0:1], 0x0
	s_load_dword s3, s[0:1], 0x24
	s_load_dword s18, s[0:1], 0x10
	v_mov_b32_e32 v3, 0
	v_mbcnt_lo_u32_b32 v1, -1, 0
	s_waitcnt lgkmcnt(0)
	v_mov_b32_e32 v4, s12
	s_and_b32 s0, s3, 0xffff
	s_mul_i32 s2, s2, s0
	v_mov_b32_e32 v5, s13
	v_add_u32_e32 v2, s2, v0
	v_lshl_add_u64 v[4:5], v[2:3], 2, v[4:5]
	global_load_dword v4, v[4:5], off
	v_mbcnt_hi_u32_b32 v1, -1, v1
	v_and_b32_e32 v5, 15, v1
	v_cmp_eq_u32_e32 vcc, 0, v5
	v_cmp_lt_u32_e64 s[0:1], 1, v5
	v_cmp_lt_u32_e64 s[2:3], 3, v5
	;; [unrolled: 1-line block ×3, first 2 shown]
	v_and_b32_e32 v5, 16, v1
	v_cmp_eq_u32_e64 s[6:7], 0, v5
	v_cmp_eq_u32_e64 s[10:11], 63, v0
	v_add_u32_e32 v0, -1, v1
	v_and_b32_e32 v5, 64, v1
	v_cmp_lt_i32_e64 s[12:13], v0, v5
	v_cmp_lt_u32_e64 s[8:9], 31, v1
	s_movk_i32 s19, 0x64
	v_cndmask_b32_e64 v0, v0, v1, s[12:13]
	v_lshlrev_b32_e32 v0, 2, v0
	v_cmp_eq_u32_e64 s[12:13], 0, v1
	v_mov_b32_e32 v1, s18
	s_branch .LBB114_2
.LBB114_1:                              ;   in Loop: Header=BB114_2 Depth=1
	s_or_b64 exec, exec, s[16:17]
	v_add_f32_e32 v4, s18, v4
	ds_bpermute_b32 v4, v0, v4
	s_add_i32 s19, s19, -1
	s_cmp_lg_u32 s19, 0
	s_waitcnt lgkmcnt(0)
	; wave barrier
	s_waitcnt lgkmcnt(0)
	v_cndmask_b32_e64 v4, v4, v1, s[12:13]
	s_cbranch_scc0 .LBB114_4
.LBB114_2:                              ; =>This Inner Loop Header: Depth=1
	s_waitcnt vmcnt(0)
	v_mov_b32_dpp v5, v4 row_shr:1 row_mask:0xf bank_mask:0xf
	v_add_f32_e32 v5, v4, v5
	v_cndmask_b32_e32 v4, v5, v4, vcc
	s_nop 1
	v_mov_b32_dpp v5, v4 row_shr:2 row_mask:0xf bank_mask:0xf
	v_add_f32_e32 v5, v4, v5
	v_cndmask_b32_e64 v4, v4, v5, s[0:1]
	s_nop 1
	v_mov_b32_dpp v5, v4 row_shr:4 row_mask:0xf bank_mask:0xf
	v_add_f32_e32 v5, v4, v5
	v_cndmask_b32_e64 v4, v4, v5, s[2:3]
	;; [unrolled: 4-line block ×3, first 2 shown]
	s_nop 1
	v_mov_b32_dpp v5, v4 row_bcast:15 row_mask:0xf bank_mask:0xf
	v_add_f32_e32 v5, v4, v5
	v_cndmask_b32_e64 v4, v5, v4, s[6:7]
	s_nop 1
	v_mov_b32_dpp v5, v4 row_bcast:31 row_mask:0xf bank_mask:0xf
	v_add_f32_e32 v5, v4, v5
	v_cndmask_b32_e64 v4, v4, v5, s[8:9]
	s_and_saveexec_b64 s[16:17], s[10:11]
	s_cbranch_execz .LBB114_1
; %bb.3:                                ;   in Loop: Header=BB114_2 Depth=1
	ds_write_b32 v3, v4
	s_branch .LBB114_1
.LBB114_4:
	v_mov_b32_e32 v0, s14
	v_mov_b32_e32 v1, s15
	v_lshl_add_u64 v[0:1], v[2:3], 2, v[0:1]
	global_store_dword v[0:1], v4, off
	s_endpgm
	.section	.rodata,"a",@progbits
	.p2align	6, 0x0
	.amdhsa_kernel _Z6kernelI14exclusive_scanILN6hipcub18BlockScanAlgorithmE1EEfLj64ELj1ELj100EEvPKT0_PS4_S4_
		.amdhsa_group_segment_fixed_size 4
		.amdhsa_private_segment_fixed_size 0
		.amdhsa_kernarg_size 280
		.amdhsa_user_sgpr_count 2
		.amdhsa_user_sgpr_dispatch_ptr 0
		.amdhsa_user_sgpr_queue_ptr 0
		.amdhsa_user_sgpr_kernarg_segment_ptr 1
		.amdhsa_user_sgpr_dispatch_id 0
		.amdhsa_user_sgpr_kernarg_preload_length 0
		.amdhsa_user_sgpr_kernarg_preload_offset 0
		.amdhsa_user_sgpr_private_segment_size 0
		.amdhsa_uses_dynamic_stack 0
		.amdhsa_enable_private_segment 0
		.amdhsa_system_sgpr_workgroup_id_x 1
		.amdhsa_system_sgpr_workgroup_id_y 0
		.amdhsa_system_sgpr_workgroup_id_z 0
		.amdhsa_system_sgpr_workgroup_info 0
		.amdhsa_system_vgpr_workitem_id 0
		.amdhsa_next_free_vgpr 6
		.amdhsa_next_free_sgpr 20
		.amdhsa_accum_offset 8
		.amdhsa_reserve_vcc 1
		.amdhsa_float_round_mode_32 0
		.amdhsa_float_round_mode_16_64 0
		.amdhsa_float_denorm_mode_32 3
		.amdhsa_float_denorm_mode_16_64 3
		.amdhsa_dx10_clamp 1
		.amdhsa_ieee_mode 1
		.amdhsa_fp16_overflow 0
		.amdhsa_tg_split 0
		.amdhsa_exception_fp_ieee_invalid_op 0
		.amdhsa_exception_fp_denorm_src 0
		.amdhsa_exception_fp_ieee_div_zero 0
		.amdhsa_exception_fp_ieee_overflow 0
		.amdhsa_exception_fp_ieee_underflow 0
		.amdhsa_exception_fp_ieee_inexact 0
		.amdhsa_exception_int_div_zero 0
	.end_amdhsa_kernel
	.section	.text._Z6kernelI14exclusive_scanILN6hipcub18BlockScanAlgorithmE1EEfLj64ELj1ELj100EEvPKT0_PS4_S4_,"axG",@progbits,_Z6kernelI14exclusive_scanILN6hipcub18BlockScanAlgorithmE1EEfLj64ELj1ELj100EEvPKT0_PS4_S4_,comdat
.Lfunc_end114:
	.size	_Z6kernelI14exclusive_scanILN6hipcub18BlockScanAlgorithmE1EEfLj64ELj1ELj100EEvPKT0_PS4_S4_, .Lfunc_end114-_Z6kernelI14exclusive_scanILN6hipcub18BlockScanAlgorithmE1EEfLj64ELj1ELj100EEvPKT0_PS4_S4_
                                        ; -- End function
	.section	.AMDGPU.csdata,"",@progbits
; Kernel info:
; codeLenInByte = 428
; NumSgprs: 26
; NumVgprs: 6
; NumAgprs: 0
; TotalNumVgprs: 6
; ScratchSize: 0
; MemoryBound: 0
; FloatMode: 240
; IeeeMode: 1
; LDSByteSize: 4 bytes/workgroup (compile time only)
; SGPRBlocks: 3
; VGPRBlocks: 0
; NumSGPRsForWavesPerEU: 26
; NumVGPRsForWavesPerEU: 6
; AccumOffset: 8
; Occupancy: 8
; WaveLimiterHint : 0
; COMPUTE_PGM_RSRC2:SCRATCH_EN: 0
; COMPUTE_PGM_RSRC2:USER_SGPR: 2
; COMPUTE_PGM_RSRC2:TRAP_HANDLER: 0
; COMPUTE_PGM_RSRC2:TGID_X_EN: 1
; COMPUTE_PGM_RSRC2:TGID_Y_EN: 0
; COMPUTE_PGM_RSRC2:TGID_Z_EN: 0
; COMPUTE_PGM_RSRC2:TIDIG_COMP_CNT: 0
; COMPUTE_PGM_RSRC3_GFX90A:ACCUM_OFFSET: 1
; COMPUTE_PGM_RSRC3_GFX90A:TG_SPLIT: 0
	.section	.text._Z6kernelI14exclusive_scanILN6hipcub18BlockScanAlgorithmE1EEfLj64ELj3ELj100EEvPKT0_PS4_S4_,"axG",@progbits,_Z6kernelI14exclusive_scanILN6hipcub18BlockScanAlgorithmE1EEfLj64ELj3ELj100EEvPKT0_PS4_S4_,comdat
	.protected	_Z6kernelI14exclusive_scanILN6hipcub18BlockScanAlgorithmE1EEfLj64ELj3ELj100EEvPKT0_PS4_S4_ ; -- Begin function _Z6kernelI14exclusive_scanILN6hipcub18BlockScanAlgorithmE1EEfLj64ELj3ELj100EEvPKT0_PS4_S4_
	.globl	_Z6kernelI14exclusive_scanILN6hipcub18BlockScanAlgorithmE1EEfLj64ELj3ELj100EEvPKT0_PS4_S4_
	.p2align	8
	.type	_Z6kernelI14exclusive_scanILN6hipcub18BlockScanAlgorithmE1EEfLj64ELj3ELj100EEvPKT0_PS4_S4_,@function
_Z6kernelI14exclusive_scanILN6hipcub18BlockScanAlgorithmE1EEfLj64ELj3ELj100EEvPKT0_PS4_S4_: ; @_Z6kernelI14exclusive_scanILN6hipcub18BlockScanAlgorithmE1EEfLj64ELj3ELj100EEvPKT0_PS4_S4_
; %bb.0:
	s_load_dword s3, s[0:1], 0x24
	s_load_dwordx4 s[16:19], s[0:1], 0x0
	s_load_dword s20, s[0:1], 0x10
	v_mov_b32_e32 v3, 0
	v_mov_b32_e32 v5, v3
	s_waitcnt lgkmcnt(0)
	s_and_b32 s0, s3, 0xffff
	s_mul_i32 s2, s2, s0
	v_add_u32_e32 v1, s2, v0
	v_lshl_add_u32 v2, v1, 1, v1
	v_lshl_add_u64 v[12:13], v[2:3], 2, s[16:17]
	v_add_u32_e32 v4, 1, v2
	v_add_u32_e32 v6, 2, v2
	v_mov_b32_e32 v7, v3
	v_lshl_add_u64 v[14:15], v[4:5], 2, s[16:17]
	v_lshl_add_u64 v[16:17], v[6:7], 2, s[16:17]
	global_load_dword v1, v[12:13], off
	global_load_dword v8, v[14:15], off
	;; [unrolled: 1-line block ×3, first 2 shown]
	v_mbcnt_lo_u32_b32 v9, -1, 0
	v_mbcnt_hi_u32_b32 v11, -1, v9
	v_and_b32_e32 v9, 15, v11
	v_cmp_eq_u32_e32 vcc, 0, v9
	v_cmp_lt_u32_e64 s[0:1], 1, v9
	v_cmp_lt_u32_e64 s[2:3], 3, v9
	;; [unrolled: 1-line block ×3, first 2 shown]
	v_and_b32_e32 v9, 16, v11
	v_cmp_eq_u32_e64 s[6:7], 0, v9
	v_add_u32_e32 v9, -1, v11
	v_and_b32_e32 v12, 64, v11
	v_cmp_lt_i32_e64 s[12:13], v9, v12
	v_cmp_eq_u32_e64 s[14:15], 0, v0
	v_cmp_lt_u32_e64 s[8:9], 31, v11
	v_cndmask_b32_e64 v9, v9, v11, s[12:13]
	v_cmp_eq_u32_e64 s[12:13], 0, v11
	v_cmp_eq_u32_e64 s[10:11], 63, v0
	v_lshlrev_b32_e32 v9, 2, v9
	s_or_b64 s[12:13], s[14:15], s[12:13]
	s_movk_i32 s16, 0x64
	v_mov_b32_e32 v0, s20
.LBB115_1:                              ; =>This Inner Loop Header: Depth=1
	s_waitcnt vmcnt(1)
	v_add_f32_e32 v11, v1, v8
	s_waitcnt vmcnt(0)
	v_add_f32_e32 v10, v10, v11
	s_nop 1
	v_mov_b32_dpp v11, v10 row_shr:1 row_mask:0xf bank_mask:0xf
	v_add_f32_e32 v11, v10, v11
	v_cndmask_b32_e32 v10, v11, v10, vcc
	s_nop 1
	v_mov_b32_dpp v11, v10 row_shr:2 row_mask:0xf bank_mask:0xf
	v_add_f32_e32 v11, v10, v11
	v_cndmask_b32_e64 v10, v10, v11, s[0:1]
	s_nop 1
	v_mov_b32_dpp v11, v10 row_shr:4 row_mask:0xf bank_mask:0xf
	v_add_f32_e32 v11, v10, v11
	v_cndmask_b32_e64 v10, v10, v11, s[2:3]
	;; [unrolled: 4-line block ×3, first 2 shown]
	s_nop 1
	v_mov_b32_dpp v11, v10 row_bcast:15 row_mask:0xf bank_mask:0xf
	v_add_f32_e32 v11, v10, v11
	v_cndmask_b32_e64 v10, v11, v10, s[6:7]
	s_nop 1
	v_mov_b32_dpp v11, v10 row_bcast:31 row_mask:0xf bank_mask:0xf
	v_add_f32_e32 v11, v10, v11
	v_cndmask_b32_e64 v10, v10, v11, s[8:9]
	s_and_saveexec_b64 s[14:15], s[10:11]
	s_cbranch_execz .LBB115_3
; %bb.2:                                ;   in Loop: Header=BB115_1 Depth=1
	ds_write_b32 v3, v10
.LBB115_3:                              ;   in Loop: Header=BB115_1 Depth=1
	s_or_b64 exec, exec, s[14:15]
	v_add_f32_e32 v10, s20, v10
	ds_bpermute_b32 v10, v9, v10
	s_add_i32 s16, s16, -1
	s_cmp_lg_u32 s16, 0
	s_waitcnt lgkmcnt(0)
	; wave barrier
	s_waitcnt lgkmcnt(0)
	v_cndmask_b32_e64 v12, v10, v0, s[12:13]
	v_add_f32_e32 v11, v1, v12
	v_add_f32_e32 v10, v8, v11
	s_cbranch_scc0 .LBB115_5
; %bb.4:                                ;   in Loop: Header=BB115_1 Depth=1
	v_mov_b32_e32 v1, v12
	v_mov_b32_e32 v8, v11
	s_branch .LBB115_1
.LBB115_5:
	v_lshl_add_u64 v[0:1], v[2:3], 2, s[18:19]
	global_store_dword v[0:1], v12, off
	v_lshl_add_u64 v[0:1], v[4:5], 2, s[18:19]
	global_store_dword v[0:1], v11, off
	;; [unrolled: 2-line block ×3, first 2 shown]
	s_endpgm
	.section	.rodata,"a",@progbits
	.p2align	6, 0x0
	.amdhsa_kernel _Z6kernelI14exclusive_scanILN6hipcub18BlockScanAlgorithmE1EEfLj64ELj3ELj100EEvPKT0_PS4_S4_
		.amdhsa_group_segment_fixed_size 4
		.amdhsa_private_segment_fixed_size 0
		.amdhsa_kernarg_size 280
		.amdhsa_user_sgpr_count 2
		.amdhsa_user_sgpr_dispatch_ptr 0
		.amdhsa_user_sgpr_queue_ptr 0
		.amdhsa_user_sgpr_kernarg_segment_ptr 1
		.amdhsa_user_sgpr_dispatch_id 0
		.amdhsa_user_sgpr_kernarg_preload_length 0
		.amdhsa_user_sgpr_kernarg_preload_offset 0
		.amdhsa_user_sgpr_private_segment_size 0
		.amdhsa_uses_dynamic_stack 0
		.amdhsa_enable_private_segment 0
		.amdhsa_system_sgpr_workgroup_id_x 1
		.amdhsa_system_sgpr_workgroup_id_y 0
		.amdhsa_system_sgpr_workgroup_id_z 0
		.amdhsa_system_sgpr_workgroup_info 0
		.amdhsa_system_vgpr_workitem_id 0
		.amdhsa_next_free_vgpr 18
		.amdhsa_next_free_sgpr 21
		.amdhsa_accum_offset 20
		.amdhsa_reserve_vcc 1
		.amdhsa_float_round_mode_32 0
		.amdhsa_float_round_mode_16_64 0
		.amdhsa_float_denorm_mode_32 3
		.amdhsa_float_denorm_mode_16_64 3
		.amdhsa_dx10_clamp 1
		.amdhsa_ieee_mode 1
		.amdhsa_fp16_overflow 0
		.amdhsa_tg_split 0
		.amdhsa_exception_fp_ieee_invalid_op 0
		.amdhsa_exception_fp_denorm_src 0
		.amdhsa_exception_fp_ieee_div_zero 0
		.amdhsa_exception_fp_ieee_overflow 0
		.amdhsa_exception_fp_ieee_underflow 0
		.amdhsa_exception_fp_ieee_inexact 0
		.amdhsa_exception_int_div_zero 0
	.end_amdhsa_kernel
	.section	.text._Z6kernelI14exclusive_scanILN6hipcub18BlockScanAlgorithmE1EEfLj64ELj3ELj100EEvPKT0_PS4_S4_,"axG",@progbits,_Z6kernelI14exclusive_scanILN6hipcub18BlockScanAlgorithmE1EEfLj64ELj3ELj100EEvPKT0_PS4_S4_,comdat
.Lfunc_end115:
	.size	_Z6kernelI14exclusive_scanILN6hipcub18BlockScanAlgorithmE1EEfLj64ELj3ELj100EEvPKT0_PS4_S4_, .Lfunc_end115-_Z6kernelI14exclusive_scanILN6hipcub18BlockScanAlgorithmE1EEfLj64ELj3ELj100EEvPKT0_PS4_S4_
                                        ; -- End function
	.section	.AMDGPU.csdata,"",@progbits
; Kernel info:
; codeLenInByte = 540
; NumSgprs: 27
; NumVgprs: 18
; NumAgprs: 0
; TotalNumVgprs: 18
; ScratchSize: 0
; MemoryBound: 0
; FloatMode: 240
; IeeeMode: 1
; LDSByteSize: 4 bytes/workgroup (compile time only)
; SGPRBlocks: 3
; VGPRBlocks: 2
; NumSGPRsForWavesPerEU: 27
; NumVGPRsForWavesPerEU: 18
; AccumOffset: 20
; Occupancy: 8
; WaveLimiterHint : 0
; COMPUTE_PGM_RSRC2:SCRATCH_EN: 0
; COMPUTE_PGM_RSRC2:USER_SGPR: 2
; COMPUTE_PGM_RSRC2:TRAP_HANDLER: 0
; COMPUTE_PGM_RSRC2:TGID_X_EN: 1
; COMPUTE_PGM_RSRC2:TGID_Y_EN: 0
; COMPUTE_PGM_RSRC2:TGID_Z_EN: 0
; COMPUTE_PGM_RSRC2:TIDIG_COMP_CNT: 0
; COMPUTE_PGM_RSRC3_GFX90A:ACCUM_OFFSET: 4
; COMPUTE_PGM_RSRC3_GFX90A:TG_SPLIT: 0
	.section	.text._Z6kernelI14exclusive_scanILN6hipcub18BlockScanAlgorithmE1EEfLj64ELj4ELj100EEvPKT0_PS4_S4_,"axG",@progbits,_Z6kernelI14exclusive_scanILN6hipcub18BlockScanAlgorithmE1EEfLj64ELj4ELj100EEvPKT0_PS4_S4_,comdat
	.protected	_Z6kernelI14exclusive_scanILN6hipcub18BlockScanAlgorithmE1EEfLj64ELj4ELj100EEvPKT0_PS4_S4_ ; -- Begin function _Z6kernelI14exclusive_scanILN6hipcub18BlockScanAlgorithmE1EEfLj64ELj4ELj100EEvPKT0_PS4_S4_
	.globl	_Z6kernelI14exclusive_scanILN6hipcub18BlockScanAlgorithmE1EEfLj64ELj4ELj100EEvPKT0_PS4_S4_
	.p2align	8
	.type	_Z6kernelI14exclusive_scanILN6hipcub18BlockScanAlgorithmE1EEfLj64ELj4ELj100EEvPKT0_PS4_S4_,@function
_Z6kernelI14exclusive_scanILN6hipcub18BlockScanAlgorithmE1EEfLj64ELj4ELj100EEvPKT0_PS4_S4_: ; @_Z6kernelI14exclusive_scanILN6hipcub18BlockScanAlgorithmE1EEfLj64ELj4ELj100EEvPKT0_PS4_S4_
; %bb.0:
	s_load_dwordx4 s[16:19], s[0:1], 0x0
	s_load_dword s3, s[0:1], 0x24
	s_load_dword s20, s[0:1], 0x10
	v_mov_b32_e32 v11, 0
	v_mbcnt_lo_u32_b32 v1, -1, 0
	s_waitcnt lgkmcnt(0)
	v_mov_b32_e32 v2, s16
	s_and_b32 s0, s3, 0xffff
	s_mul_i32 s2, s2, s0
	v_mov_b32_e32 v3, s17
	v_add_lshl_u32 v10, s2, v0, 2
	v_lshl_add_u64 v[2:3], v[10:11], 2, v[2:3]
	global_load_dwordx4 v[2:5], v[2:3], off
	v_mbcnt_hi_u32_b32 v6, -1, v1
	v_and_b32_e32 v1, 15, v6
	v_cmp_eq_u32_e32 vcc, 0, v1
	v_cmp_lt_u32_e64 s[0:1], 1, v1
	v_cmp_lt_u32_e64 s[2:3], 3, v1
	;; [unrolled: 1-line block ×3, first 2 shown]
	v_and_b32_e32 v1, 16, v6
	v_cmp_eq_u32_e64 s[6:7], 0, v1
	v_add_u32_e32 v1, -1, v6
	v_and_b32_e32 v7, 64, v6
	v_cmp_lt_i32_e64 s[12:13], v1, v7
	v_cmp_eq_u32_e64 s[14:15], 0, v0
	v_cmp_lt_u32_e64 s[8:9], 31, v6
	v_cndmask_b32_e64 v1, v1, v6, s[12:13]
	v_cmp_eq_u32_e64 s[12:13], 0, v6
	v_cmp_eq_u32_e64 s[10:11], 63, v0
	v_lshlrev_b32_e32 v1, 2, v1
	s_or_b64 s[12:13], s[14:15], s[12:13]
	s_movk_i32 s16, 0x64
	v_mov_b32_e32 v0, s20
.LBB116_1:                              ; =>This Inner Loop Header: Depth=1
	s_waitcnt vmcnt(0)
	v_add_f32_e32 v6, v2, v3
	v_add_f32_e32 v6, v4, v6
	;; [unrolled: 1-line block ×3, first 2 shown]
	s_nop 1
	v_mov_b32_dpp v6, v5 row_shr:1 row_mask:0xf bank_mask:0xf
	v_add_f32_e32 v6, v5, v6
	v_cndmask_b32_e32 v5, v6, v5, vcc
	s_nop 1
	v_mov_b32_dpp v6, v5 row_shr:2 row_mask:0xf bank_mask:0xf
	v_add_f32_e32 v6, v5, v6
	v_cndmask_b32_e64 v5, v5, v6, s[0:1]
	s_nop 1
	v_mov_b32_dpp v6, v5 row_shr:4 row_mask:0xf bank_mask:0xf
	v_add_f32_e32 v6, v5, v6
	v_cndmask_b32_e64 v5, v5, v6, s[2:3]
	s_nop 1
	v_mov_b32_dpp v6, v5 row_shr:8 row_mask:0xf bank_mask:0xf
	v_add_f32_e32 v6, v5, v6
	v_cndmask_b32_e64 v5, v5, v6, s[4:5]
	s_nop 1
	v_mov_b32_dpp v6, v5 row_bcast:15 row_mask:0xf bank_mask:0xf
	v_add_f32_e32 v6, v5, v6
	v_cndmask_b32_e64 v5, v6, v5, s[6:7]
	s_nop 1
	v_mov_b32_dpp v6, v5 row_bcast:31 row_mask:0xf bank_mask:0xf
	v_add_f32_e32 v6, v5, v6
	v_cndmask_b32_e64 v5, v5, v6, s[8:9]
	s_and_saveexec_b64 s[14:15], s[10:11]
	s_cbranch_execz .LBB116_3
; %bb.2:                                ;   in Loop: Header=BB116_1 Depth=1
	ds_write_b32 v11, v5
.LBB116_3:                              ;   in Loop: Header=BB116_1 Depth=1
	s_or_b64 exec, exec, s[14:15]
	v_add_f32_e32 v5, s20, v5
	ds_bpermute_b32 v5, v1, v5
	s_add_i32 s16, s16, -1
	s_cmp_lg_u32 s16, 0
	s_waitcnt lgkmcnt(0)
	; wave barrier
	s_waitcnt lgkmcnt(0)
	v_cndmask_b32_e64 v6, v5, v0, s[12:13]
	v_add_f32_e32 v7, v2, v6
	v_add_f32_e32 v8, v3, v7
	;; [unrolled: 1-line block ×3, first 2 shown]
	s_cbranch_scc0 .LBB116_5
; %bb.4:                                ;   in Loop: Header=BB116_1 Depth=1
	v_mov_b32_e32 v2, v6
	v_mov_b32_e32 v3, v7
	;; [unrolled: 1-line block ×3, first 2 shown]
	s_branch .LBB116_1
.LBB116_5:
	v_mov_b32_e32 v0, s18
	v_mov_b32_e32 v1, s19
	v_lshl_add_u64 v[0:1], v[10:11], 2, v[0:1]
	v_mov_b32_e32 v9, v5
	global_store_dwordx4 v[0:1], v[6:9], off
	s_endpgm
	.section	.rodata,"a",@progbits
	.p2align	6, 0x0
	.amdhsa_kernel _Z6kernelI14exclusive_scanILN6hipcub18BlockScanAlgorithmE1EEfLj64ELj4ELj100EEvPKT0_PS4_S4_
		.amdhsa_group_segment_fixed_size 4
		.amdhsa_private_segment_fixed_size 0
		.amdhsa_kernarg_size 280
		.amdhsa_user_sgpr_count 2
		.amdhsa_user_sgpr_dispatch_ptr 0
		.amdhsa_user_sgpr_queue_ptr 0
		.amdhsa_user_sgpr_kernarg_segment_ptr 1
		.amdhsa_user_sgpr_dispatch_id 0
		.amdhsa_user_sgpr_kernarg_preload_length 0
		.amdhsa_user_sgpr_kernarg_preload_offset 0
		.amdhsa_user_sgpr_private_segment_size 0
		.amdhsa_uses_dynamic_stack 0
		.amdhsa_enable_private_segment 0
		.amdhsa_system_sgpr_workgroup_id_x 1
		.amdhsa_system_sgpr_workgroup_id_y 0
		.amdhsa_system_sgpr_workgroup_id_z 0
		.amdhsa_system_sgpr_workgroup_info 0
		.amdhsa_system_vgpr_workitem_id 0
		.amdhsa_next_free_vgpr 12
		.amdhsa_next_free_sgpr 21
		.amdhsa_accum_offset 12
		.amdhsa_reserve_vcc 1
		.amdhsa_float_round_mode_32 0
		.amdhsa_float_round_mode_16_64 0
		.amdhsa_float_denorm_mode_32 3
		.amdhsa_float_denorm_mode_16_64 3
		.amdhsa_dx10_clamp 1
		.amdhsa_ieee_mode 1
		.amdhsa_fp16_overflow 0
		.amdhsa_tg_split 0
		.amdhsa_exception_fp_ieee_invalid_op 0
		.amdhsa_exception_fp_denorm_src 0
		.amdhsa_exception_fp_ieee_div_zero 0
		.amdhsa_exception_fp_ieee_overflow 0
		.amdhsa_exception_fp_ieee_underflow 0
		.amdhsa_exception_fp_ieee_inexact 0
		.amdhsa_exception_int_div_zero 0
	.end_amdhsa_kernel
	.section	.text._Z6kernelI14exclusive_scanILN6hipcub18BlockScanAlgorithmE1EEfLj64ELj4ELj100EEvPKT0_PS4_S4_,"axG",@progbits,_Z6kernelI14exclusive_scanILN6hipcub18BlockScanAlgorithmE1EEfLj64ELj4ELj100EEvPKT0_PS4_S4_,comdat
.Lfunc_end116:
	.size	_Z6kernelI14exclusive_scanILN6hipcub18BlockScanAlgorithmE1EEfLj64ELj4ELj100EEvPKT0_PS4_S4_, .Lfunc_end116-_Z6kernelI14exclusive_scanILN6hipcub18BlockScanAlgorithmE1EEfLj64ELj4ELj100EEvPKT0_PS4_S4_
                                        ; -- End function
	.section	.AMDGPU.csdata,"",@progbits
; Kernel info:
; codeLenInByte = 484
; NumSgprs: 27
; NumVgprs: 12
; NumAgprs: 0
; TotalNumVgprs: 12
; ScratchSize: 0
; MemoryBound: 0
; FloatMode: 240
; IeeeMode: 1
; LDSByteSize: 4 bytes/workgroup (compile time only)
; SGPRBlocks: 3
; VGPRBlocks: 1
; NumSGPRsForWavesPerEU: 27
; NumVGPRsForWavesPerEU: 12
; AccumOffset: 12
; Occupancy: 8
; WaveLimiterHint : 0
; COMPUTE_PGM_RSRC2:SCRATCH_EN: 0
; COMPUTE_PGM_RSRC2:USER_SGPR: 2
; COMPUTE_PGM_RSRC2:TRAP_HANDLER: 0
; COMPUTE_PGM_RSRC2:TGID_X_EN: 1
; COMPUTE_PGM_RSRC2:TGID_Y_EN: 0
; COMPUTE_PGM_RSRC2:TGID_Z_EN: 0
; COMPUTE_PGM_RSRC2:TIDIG_COMP_CNT: 0
; COMPUTE_PGM_RSRC3_GFX90A:ACCUM_OFFSET: 2
; COMPUTE_PGM_RSRC3_GFX90A:TG_SPLIT: 0
	.section	.text._Z6kernelI14exclusive_scanILN6hipcub18BlockScanAlgorithmE1EEfLj64ELj8ELj100EEvPKT0_PS4_S4_,"axG",@progbits,_Z6kernelI14exclusive_scanILN6hipcub18BlockScanAlgorithmE1EEfLj64ELj8ELj100EEvPKT0_PS4_S4_,comdat
	.protected	_Z6kernelI14exclusive_scanILN6hipcub18BlockScanAlgorithmE1EEfLj64ELj8ELj100EEvPKT0_PS4_S4_ ; -- Begin function _Z6kernelI14exclusive_scanILN6hipcub18BlockScanAlgorithmE1EEfLj64ELj8ELj100EEvPKT0_PS4_S4_
	.globl	_Z6kernelI14exclusive_scanILN6hipcub18BlockScanAlgorithmE1EEfLj64ELj8ELj100EEvPKT0_PS4_S4_
	.p2align	8
	.type	_Z6kernelI14exclusive_scanILN6hipcub18BlockScanAlgorithmE1EEfLj64ELj8ELj100EEvPKT0_PS4_S4_,@function
_Z6kernelI14exclusive_scanILN6hipcub18BlockScanAlgorithmE1EEfLj64ELj8ELj100EEvPKT0_PS4_S4_: ; @_Z6kernelI14exclusive_scanILN6hipcub18BlockScanAlgorithmE1EEfLj64ELj8ELj100EEvPKT0_PS4_S4_
; %bb.0:
	s_load_dwordx4 s[16:19], s[0:1], 0x0
	s_load_dword s3, s[0:1], 0x24
	s_load_dword s20, s[0:1], 0x10
	v_mov_b32_e32 v19, 0
	v_mbcnt_lo_u32_b32 v1, -1, 0
	s_waitcnt lgkmcnt(0)
	v_mov_b32_e32 v2, s16
	s_and_b32 s0, s3, 0xffff
	s_mul_i32 s2, s2, s0
	v_mov_b32_e32 v3, s17
	v_add_lshl_u32 v18, s2, v0, 3
	v_lshl_add_u64 v[10:11], v[18:19], 2, v[2:3]
	global_load_dwordx4 v[6:9], v[10:11], off
	global_load_dwordx4 v[2:5], v[10:11], off offset:16
	v_mbcnt_hi_u32_b32 v10, -1, v1
	v_and_b32_e32 v1, 15, v10
	v_cmp_eq_u32_e32 vcc, 0, v1
	v_cmp_lt_u32_e64 s[0:1], 1, v1
	v_cmp_lt_u32_e64 s[2:3], 3, v1
	;; [unrolled: 1-line block ×3, first 2 shown]
	v_and_b32_e32 v1, 16, v10
	v_cmp_eq_u32_e64 s[6:7], 0, v1
	v_add_u32_e32 v1, -1, v10
	v_and_b32_e32 v11, 64, v10
	v_cmp_lt_i32_e64 s[12:13], v1, v11
	v_cmp_eq_u32_e64 s[14:15], 0, v0
	v_cmp_lt_u32_e64 s[8:9], 31, v10
	v_cndmask_b32_e64 v1, v1, v10, s[12:13]
	v_cmp_eq_u32_e64 s[12:13], 0, v10
	v_cmp_eq_u32_e64 s[10:11], 63, v0
	v_lshlrev_b32_e32 v1, 2, v1
	s_or_b64 s[12:13], s[14:15], s[12:13]
	s_movk_i32 s16, 0x64
	v_mov_b32_e32 v0, s20
.LBB117_1:                              ; =>This Inner Loop Header: Depth=1
	s_waitcnt vmcnt(1)
	v_add_f32_e32 v10, v6, v7
	v_add_f32_e32 v10, v8, v10
	;; [unrolled: 1-line block ×3, first 2 shown]
	s_waitcnt vmcnt(0)
	v_add_f32_e32 v10, v2, v10
	v_add_f32_e32 v10, v3, v10
	;; [unrolled: 1-line block ×4, first 2 shown]
	s_nop 1
	v_mov_b32_dpp v10, v5 row_shr:1 row_mask:0xf bank_mask:0xf
	v_add_f32_e32 v10, v5, v10
	v_cndmask_b32_e32 v5, v10, v5, vcc
	s_nop 1
	v_mov_b32_dpp v10, v5 row_shr:2 row_mask:0xf bank_mask:0xf
	v_add_f32_e32 v10, v5, v10
	v_cndmask_b32_e64 v5, v5, v10, s[0:1]
	s_nop 1
	v_mov_b32_dpp v10, v5 row_shr:4 row_mask:0xf bank_mask:0xf
	v_add_f32_e32 v10, v5, v10
	v_cndmask_b32_e64 v5, v5, v10, s[2:3]
	;; [unrolled: 4-line block ×3, first 2 shown]
	s_nop 1
	v_mov_b32_dpp v10, v5 row_bcast:15 row_mask:0xf bank_mask:0xf
	v_add_f32_e32 v10, v5, v10
	v_cndmask_b32_e64 v5, v10, v5, s[6:7]
	s_nop 1
	v_mov_b32_dpp v10, v5 row_bcast:31 row_mask:0xf bank_mask:0xf
	v_add_f32_e32 v10, v5, v10
	v_cndmask_b32_e64 v5, v5, v10, s[8:9]
	s_and_saveexec_b64 s[14:15], s[10:11]
	s_cbranch_execz .LBB117_3
; %bb.2:                                ;   in Loop: Header=BB117_1 Depth=1
	ds_write_b32 v19, v5
.LBB117_3:                              ;   in Loop: Header=BB117_1 Depth=1
	s_or_b64 exec, exec, s[14:15]
	v_add_f32_e32 v5, s20, v5
	ds_bpermute_b32 v5, v1, v5
	s_add_i32 s16, s16, -1
	s_cmp_lg_u32 s16, 0
	s_waitcnt lgkmcnt(0)
	; wave barrier
	s_waitcnt lgkmcnt(0)
	v_cndmask_b32_e64 v14, v5, v0, s[12:13]
	v_add_f32_e32 v15, v6, v14
	v_add_f32_e32 v16, v7, v15
	;; [unrolled: 1-line block ×7, first 2 shown]
	s_cbranch_scc0 .LBB117_5
; %bb.4:                                ;   in Loop: Header=BB117_1 Depth=1
	v_mov_b32_e32 v6, v14
	v_mov_b32_e32 v7, v15
	;; [unrolled: 1-line block ×7, first 2 shown]
	s_branch .LBB117_1
.LBB117_5:
	v_mov_b32_e32 v0, s18
	v_mov_b32_e32 v1, s19
	v_lshl_add_u64 v[0:1], v[18:19], 2, v[0:1]
	global_store_dwordx3 v[0:1], v[14:16], off
	global_store_dwordx4 v[0:1], v[10:13], off offset:12
	global_store_dword v[0:1], v5, off offset:28
	s_endpgm
	.section	.rodata,"a",@progbits
	.p2align	6, 0x0
	.amdhsa_kernel _Z6kernelI14exclusive_scanILN6hipcub18BlockScanAlgorithmE1EEfLj64ELj8ELj100EEvPKT0_PS4_S4_
		.amdhsa_group_segment_fixed_size 4
		.amdhsa_private_segment_fixed_size 0
		.amdhsa_kernarg_size 280
		.amdhsa_user_sgpr_count 2
		.amdhsa_user_sgpr_dispatch_ptr 0
		.amdhsa_user_sgpr_queue_ptr 0
		.amdhsa_user_sgpr_kernarg_segment_ptr 1
		.amdhsa_user_sgpr_dispatch_id 0
		.amdhsa_user_sgpr_kernarg_preload_length 0
		.amdhsa_user_sgpr_kernarg_preload_offset 0
		.amdhsa_user_sgpr_private_segment_size 0
		.amdhsa_uses_dynamic_stack 0
		.amdhsa_enable_private_segment 0
		.amdhsa_system_sgpr_workgroup_id_x 1
		.amdhsa_system_sgpr_workgroup_id_y 0
		.amdhsa_system_sgpr_workgroup_id_z 0
		.amdhsa_system_sgpr_workgroup_info 0
		.amdhsa_system_vgpr_workitem_id 0
		.amdhsa_next_free_vgpr 20
		.amdhsa_next_free_sgpr 21
		.amdhsa_accum_offset 20
		.amdhsa_reserve_vcc 1
		.amdhsa_float_round_mode_32 0
		.amdhsa_float_round_mode_16_64 0
		.amdhsa_float_denorm_mode_32 3
		.amdhsa_float_denorm_mode_16_64 3
		.amdhsa_dx10_clamp 1
		.amdhsa_ieee_mode 1
		.amdhsa_fp16_overflow 0
		.amdhsa_tg_split 0
		.amdhsa_exception_fp_ieee_invalid_op 0
		.amdhsa_exception_fp_denorm_src 0
		.amdhsa_exception_fp_ieee_div_zero 0
		.amdhsa_exception_fp_ieee_overflow 0
		.amdhsa_exception_fp_ieee_underflow 0
		.amdhsa_exception_fp_ieee_inexact 0
		.amdhsa_exception_int_div_zero 0
	.end_amdhsa_kernel
	.section	.text._Z6kernelI14exclusive_scanILN6hipcub18BlockScanAlgorithmE1EEfLj64ELj8ELj100EEvPKT0_PS4_S4_,"axG",@progbits,_Z6kernelI14exclusive_scanILN6hipcub18BlockScanAlgorithmE1EEfLj64ELj8ELj100EEvPKT0_PS4_S4_,comdat
.Lfunc_end117:
	.size	_Z6kernelI14exclusive_scanILN6hipcub18BlockScanAlgorithmE1EEfLj64ELj8ELj100EEvPKT0_PS4_S4_, .Lfunc_end117-_Z6kernelI14exclusive_scanILN6hipcub18BlockScanAlgorithmE1EEfLj64ELj8ELj100EEvPKT0_PS4_S4_
                                        ; -- End function
	.section	.AMDGPU.csdata,"",@progbits
; Kernel info:
; codeLenInByte = 556
; NumSgprs: 27
; NumVgprs: 20
; NumAgprs: 0
; TotalNumVgprs: 20
; ScratchSize: 0
; MemoryBound: 0
; FloatMode: 240
; IeeeMode: 1
; LDSByteSize: 4 bytes/workgroup (compile time only)
; SGPRBlocks: 3
; VGPRBlocks: 2
; NumSGPRsForWavesPerEU: 27
; NumVGPRsForWavesPerEU: 20
; AccumOffset: 20
; Occupancy: 8
; WaveLimiterHint : 0
; COMPUTE_PGM_RSRC2:SCRATCH_EN: 0
; COMPUTE_PGM_RSRC2:USER_SGPR: 2
; COMPUTE_PGM_RSRC2:TRAP_HANDLER: 0
; COMPUTE_PGM_RSRC2:TGID_X_EN: 1
; COMPUTE_PGM_RSRC2:TGID_Y_EN: 0
; COMPUTE_PGM_RSRC2:TGID_Z_EN: 0
; COMPUTE_PGM_RSRC2:TIDIG_COMP_CNT: 0
; COMPUTE_PGM_RSRC3_GFX90A:ACCUM_OFFSET: 4
; COMPUTE_PGM_RSRC3_GFX90A:TG_SPLIT: 0
	.section	.text._Z6kernelI14exclusive_scanILN6hipcub18BlockScanAlgorithmE1EEfLj64ELj11ELj100EEvPKT0_PS4_S4_,"axG",@progbits,_Z6kernelI14exclusive_scanILN6hipcub18BlockScanAlgorithmE1EEfLj64ELj11ELj100EEvPKT0_PS4_S4_,comdat
	.protected	_Z6kernelI14exclusive_scanILN6hipcub18BlockScanAlgorithmE1EEfLj64ELj11ELj100EEvPKT0_PS4_S4_ ; -- Begin function _Z6kernelI14exclusive_scanILN6hipcub18BlockScanAlgorithmE1EEfLj64ELj11ELj100EEvPKT0_PS4_S4_
	.globl	_Z6kernelI14exclusive_scanILN6hipcub18BlockScanAlgorithmE1EEfLj64ELj11ELj100EEvPKT0_PS4_S4_
	.p2align	8
	.type	_Z6kernelI14exclusive_scanILN6hipcub18BlockScanAlgorithmE1EEfLj64ELj11ELj100EEvPKT0_PS4_S4_,@function
_Z6kernelI14exclusive_scanILN6hipcub18BlockScanAlgorithmE1EEfLj64ELj11ELj100EEvPKT0_PS4_S4_: ; @_Z6kernelI14exclusive_scanILN6hipcub18BlockScanAlgorithmE1EEfLj64ELj11ELj100EEvPKT0_PS4_S4_
; %bb.0:
	s_load_dword s3, s[0:1], 0x24
	s_load_dwordx4 s[16:19], s[0:1], 0x0
	s_load_dword s20, s[0:1], 0x10
	v_mov_b32_e32 v3, 0
	v_mov_b32_e32 v5, v3
	s_waitcnt lgkmcnt(0)
	s_and_b32 s0, s3, 0xffff
	s_mul_i32 s2, s2, s0
	v_add_u32_e32 v1, s2, v0
	v_mul_lo_u32 v2, v1, 11
	v_lshl_add_u64 v[18:19], v[2:3], 2, s[16:17]
	v_add_u32_e32 v4, 1, v2
	v_add_u32_e32 v6, 2, v2
	v_mov_b32_e32 v7, v3
	v_add_u32_e32 v8, 3, v2
	v_mov_b32_e32 v9, v3
	;; [unrolled: 2-line block ×6, first 2 shown]
	v_lshl_add_u64 v[20:21], v[4:5], 2, s[16:17]
	v_lshl_add_u64 v[22:23], v[6:7], 2, s[16:17]
	;; [unrolled: 1-line block ×7, first 2 shown]
	global_load_dword v30, v[18:19], off
	global_load_dword v29, v[20:21], off
	;; [unrolled: 1-line block ×8, first 2 shown]
	v_add_u32_e32 v18, 8, v2
	v_mov_b32_e32 v19, v3
	v_lshl_add_u64 v[36:37], v[18:19], 2, s[16:17]
	v_add_u32_e32 v20, 9, v2
	v_mov_b32_e32 v21, v3
	v_add_u32_e32 v22, 10, v2
	v_mov_b32_e32 v23, v3
	v_lshl_add_u64 v[38:39], v[20:21], 2, s[16:17]
	v_lshl_add_u64 v[40:41], v[22:23], 2, s[16:17]
	global_load_dword v32, v[36:37], off
	global_load_dword v31, v[38:39], off
	;; [unrolled: 1-line block ×3, first 2 shown]
	v_mbcnt_lo_u32_b32 v33, -1, 0
	v_mbcnt_hi_u32_b32 v35, -1, v33
	v_and_b32_e32 v33, 15, v35
	v_cmp_eq_u32_e32 vcc, 0, v33
	v_cmp_lt_u32_e64 s[0:1], 1, v33
	v_cmp_lt_u32_e64 s[2:3], 3, v33
	v_cmp_lt_u32_e64 s[4:5], 7, v33
	v_and_b32_e32 v33, 16, v35
	v_cmp_eq_u32_e64 s[6:7], 0, v33
	v_add_u32_e32 v33, -1, v35
	v_and_b32_e32 v36, 64, v35
	v_cmp_lt_i32_e64 s[12:13], v33, v36
	v_cmp_eq_u32_e64 s[14:15], 0, v0
	v_cmp_lt_u32_e64 s[8:9], 31, v35
	v_cndmask_b32_e64 v33, v33, v35, s[12:13]
	v_cmp_eq_u32_e64 s[12:13], 0, v35
	v_cmp_eq_u32_e64 s[10:11], 63, v0
	v_lshlrev_b32_e32 v33, 2, v33
	s_or_b64 s[12:13], s[14:15], s[12:13]
	s_movk_i32 s16, 0x64
	v_mov_b32_e32 v0, s20
.LBB118_1:                              ; =>This Inner Loop Header: Depth=1
	s_waitcnt vmcnt(9)
	v_add_f32_e32 v35, v29, v30
	s_waitcnt vmcnt(8)
	v_add_f32_e32 v35, v28, v35
	;; [unrolled: 2-line block ×10, first 2 shown]
	s_nop 1
	v_mov_b32_dpp v35, v34 row_shr:1 row_mask:0xf bank_mask:0xf
	v_add_f32_e32 v35, v34, v35
	v_cndmask_b32_e32 v34, v35, v34, vcc
	s_nop 1
	v_mov_b32_dpp v35, v34 row_shr:2 row_mask:0xf bank_mask:0xf
	v_add_f32_e32 v35, v34, v35
	v_cndmask_b32_e64 v34, v34, v35, s[0:1]
	s_nop 1
	v_mov_b32_dpp v35, v34 row_shr:4 row_mask:0xf bank_mask:0xf
	v_add_f32_e32 v35, v34, v35
	v_cndmask_b32_e64 v34, v34, v35, s[2:3]
	;; [unrolled: 4-line block ×3, first 2 shown]
	s_nop 1
	v_mov_b32_dpp v35, v34 row_bcast:15 row_mask:0xf bank_mask:0xf
	v_add_f32_e32 v35, v34, v35
	v_cndmask_b32_e64 v34, v35, v34, s[6:7]
	s_nop 1
	v_mov_b32_dpp v35, v34 row_bcast:31 row_mask:0xf bank_mask:0xf
	v_add_f32_e32 v35, v34, v35
	v_cndmask_b32_e64 v34, v34, v35, s[8:9]
	s_and_saveexec_b64 s[14:15], s[10:11]
	s_cbranch_execz .LBB118_3
; %bb.2:                                ;   in Loop: Header=BB118_1 Depth=1
	ds_write_b32 v3, v34
.LBB118_3:                              ;   in Loop: Header=BB118_1 Depth=1
	s_or_b64 exec, exec, s[14:15]
	v_add_f32_e32 v34, s20, v34
	ds_bpermute_b32 v34, v33, v34
	s_add_i32 s16, s16, -1
	s_cmp_lg_u32 s16, 0
	s_waitcnt lgkmcnt(0)
	; wave barrier
	s_waitcnt lgkmcnt(0)
	v_cndmask_b32_e64 v35, v34, v0, s[12:13]
	v_add_f32_e32 v30, v30, v35
	v_add_f32_e32 v29, v29, v30
	v_add_f32_e32 v28, v28, v29
	v_add_f32_e32 v27, v27, v28
	v_add_f32_e32 v26, v26, v27
	v_add_f32_e32 v25, v25, v26
	v_add_f32_e32 v24, v24, v25
	v_add_f32_e32 v1, v1, v24
	v_add_f32_e32 v32, v32, v1
	v_add_f32_e32 v34, v31, v32
	s_cbranch_scc0 .LBB118_5
; %bb.4:                                ;   in Loop: Header=BB118_1 Depth=1
	v_mov_b32_e32 v31, v32
	v_mov_b32_e32 v32, v1
	;; [unrolled: 1-line block ×10, first 2 shown]
	s_branch .LBB118_1
.LBB118_5:
	v_lshl_add_u64 v[2:3], v[2:3], 2, s[18:19]
	global_store_dword v[2:3], v35, off
	v_lshl_add_u64 v[2:3], v[4:5], 2, s[18:19]
	global_store_dword v[2:3], v30, off
	;; [unrolled: 2-line block ×11, first 2 shown]
	s_endpgm
	.section	.rodata,"a",@progbits
	.p2align	6, 0x0
	.amdhsa_kernel _Z6kernelI14exclusive_scanILN6hipcub18BlockScanAlgorithmE1EEfLj64ELj11ELj100EEvPKT0_PS4_S4_
		.amdhsa_group_segment_fixed_size 4
		.amdhsa_private_segment_fixed_size 0
		.amdhsa_kernarg_size 280
		.amdhsa_user_sgpr_count 2
		.amdhsa_user_sgpr_dispatch_ptr 0
		.amdhsa_user_sgpr_queue_ptr 0
		.amdhsa_user_sgpr_kernarg_segment_ptr 1
		.amdhsa_user_sgpr_dispatch_id 0
		.amdhsa_user_sgpr_kernarg_preload_length 0
		.amdhsa_user_sgpr_kernarg_preload_offset 0
		.amdhsa_user_sgpr_private_segment_size 0
		.amdhsa_uses_dynamic_stack 0
		.amdhsa_enable_private_segment 0
		.amdhsa_system_sgpr_workgroup_id_x 1
		.amdhsa_system_sgpr_workgroup_id_y 0
		.amdhsa_system_sgpr_workgroup_id_z 0
		.amdhsa_system_sgpr_workgroup_info 0
		.amdhsa_system_vgpr_workitem_id 0
		.amdhsa_next_free_vgpr 42
		.amdhsa_next_free_sgpr 21
		.amdhsa_accum_offset 44
		.amdhsa_reserve_vcc 1
		.amdhsa_float_round_mode_32 0
		.amdhsa_float_round_mode_16_64 0
		.amdhsa_float_denorm_mode_32 3
		.amdhsa_float_denorm_mode_16_64 3
		.amdhsa_dx10_clamp 1
		.amdhsa_ieee_mode 1
		.amdhsa_fp16_overflow 0
		.amdhsa_tg_split 0
		.amdhsa_exception_fp_ieee_invalid_op 0
		.amdhsa_exception_fp_denorm_src 0
		.amdhsa_exception_fp_ieee_div_zero 0
		.amdhsa_exception_fp_ieee_overflow 0
		.amdhsa_exception_fp_ieee_underflow 0
		.amdhsa_exception_fp_ieee_inexact 0
		.amdhsa_exception_int_div_zero 0
	.end_amdhsa_kernel
	.section	.text._Z6kernelI14exclusive_scanILN6hipcub18BlockScanAlgorithmE1EEfLj64ELj11ELj100EEvPKT0_PS4_S4_,"axG",@progbits,_Z6kernelI14exclusive_scanILN6hipcub18BlockScanAlgorithmE1EEfLj64ELj11ELj100EEvPKT0_PS4_S4_,comdat
.Lfunc_end118:
	.size	_Z6kernelI14exclusive_scanILN6hipcub18BlockScanAlgorithmE1EEfLj64ELj11ELj100EEvPKT0_PS4_S4_, .Lfunc_end118-_Z6kernelI14exclusive_scanILN6hipcub18BlockScanAlgorithmE1EEfLj64ELj11ELj100EEvPKT0_PS4_S4_
                                        ; -- End function
	.section	.AMDGPU.csdata,"",@progbits
; Kernel info:
; codeLenInByte = 988
; NumSgprs: 27
; NumVgprs: 42
; NumAgprs: 0
; TotalNumVgprs: 42
; ScratchSize: 0
; MemoryBound: 0
; FloatMode: 240
; IeeeMode: 1
; LDSByteSize: 4 bytes/workgroup (compile time only)
; SGPRBlocks: 3
; VGPRBlocks: 5
; NumSGPRsForWavesPerEU: 27
; NumVGPRsForWavesPerEU: 42
; AccumOffset: 44
; Occupancy: 8
; WaveLimiterHint : 0
; COMPUTE_PGM_RSRC2:SCRATCH_EN: 0
; COMPUTE_PGM_RSRC2:USER_SGPR: 2
; COMPUTE_PGM_RSRC2:TRAP_HANDLER: 0
; COMPUTE_PGM_RSRC2:TGID_X_EN: 1
; COMPUTE_PGM_RSRC2:TGID_Y_EN: 0
; COMPUTE_PGM_RSRC2:TGID_Z_EN: 0
; COMPUTE_PGM_RSRC2:TIDIG_COMP_CNT: 0
; COMPUTE_PGM_RSRC3_GFX90A:ACCUM_OFFSET: 10
; COMPUTE_PGM_RSRC3_GFX90A:TG_SPLIT: 0
	.section	.text._Z6kernelI14exclusive_scanILN6hipcub18BlockScanAlgorithmE1EEfLj64ELj16ELj100EEvPKT0_PS4_S4_,"axG",@progbits,_Z6kernelI14exclusive_scanILN6hipcub18BlockScanAlgorithmE1EEfLj64ELj16ELj100EEvPKT0_PS4_S4_,comdat
	.protected	_Z6kernelI14exclusive_scanILN6hipcub18BlockScanAlgorithmE1EEfLj64ELj16ELj100EEvPKT0_PS4_S4_ ; -- Begin function _Z6kernelI14exclusive_scanILN6hipcub18BlockScanAlgorithmE1EEfLj64ELj16ELj100EEvPKT0_PS4_S4_
	.globl	_Z6kernelI14exclusive_scanILN6hipcub18BlockScanAlgorithmE1EEfLj64ELj16ELj100EEvPKT0_PS4_S4_
	.p2align	8
	.type	_Z6kernelI14exclusive_scanILN6hipcub18BlockScanAlgorithmE1EEfLj64ELj16ELj100EEvPKT0_PS4_S4_,@function
_Z6kernelI14exclusive_scanILN6hipcub18BlockScanAlgorithmE1EEfLj64ELj16ELj100EEvPKT0_PS4_S4_: ; @_Z6kernelI14exclusive_scanILN6hipcub18BlockScanAlgorithmE1EEfLj64ELj16ELj100EEvPKT0_PS4_S4_
; %bb.0:
	s_load_dwordx4 s[16:19], s[0:1], 0x0
	s_load_dword s3, s[0:1], 0x24
	s_load_dword s20, s[0:1], 0x10
	v_mov_b32_e32 v27, 0
	v_mbcnt_lo_u32_b32 v1, -1, 0
	s_waitcnt lgkmcnt(0)
	v_mov_b32_e32 v2, s16
	s_and_b32 s0, s3, 0xffff
	s_mul_i32 s2, s2, s0
	v_mov_b32_e32 v3, s17
	v_add_lshl_u32 v26, s2, v0, 4
	v_lshl_add_u64 v[18:19], v[26:27], 2, v[2:3]
	global_load_dwordx4 v[2:5], v[18:19], off offset:48
	global_load_dwordx4 v[6:9], v[18:19], off offset:32
	global_load_dwordx4 v[10:13], v[18:19], off
	global_load_dwordx4 v[14:17], v[18:19], off offset:16
	v_mbcnt_hi_u32_b32 v1, -1, v1
	v_and_b32_e32 v18, 15, v1
	v_cmp_eq_u32_e32 vcc, 0, v18
	v_cmp_lt_u32_e64 s[0:1], 1, v18
	v_cmp_lt_u32_e64 s[2:3], 3, v18
	;; [unrolled: 1-line block ×3, first 2 shown]
	v_and_b32_e32 v18, 16, v1
	v_cmp_eq_u32_e64 s[6:7], 0, v18
	v_add_u32_e32 v18, -1, v1
	v_and_b32_e32 v19, 64, v1
	v_cmp_lt_i32_e64 s[12:13], v18, v19
	v_cmp_eq_u32_e64 s[14:15], 0, v0
	v_cmp_lt_u32_e64 s[8:9], 31, v1
	v_cndmask_b32_e64 v18, v18, v1, s[12:13]
	v_cmp_eq_u32_e64 s[12:13], 0, v1
	v_cmp_eq_u32_e64 s[10:11], 63, v0
	v_lshlrev_b32_e32 v28, 2, v18
	s_or_b64 s[12:13], s[14:15], s[12:13]
	s_movk_i32 s16, 0x64
.LBB119_1:                              ; =>This Inner Loop Header: Depth=1
	s_waitcnt vmcnt(1)
	v_add_f32_e32 v0, v11, v10
	v_add_f32_e32 v0, v12, v0
	;; [unrolled: 1-line block ×3, first 2 shown]
	s_waitcnt vmcnt(0)
	v_add_f32_e32 v0, v14, v0
	v_add_f32_e32 v0, v15, v0
	;; [unrolled: 1-line block ×12, first 2 shown]
	s_nop 1
	v_mov_b32_dpp v1, v0 row_shr:1 row_mask:0xf bank_mask:0xf
	v_add_f32_e32 v1, v0, v1
	v_cndmask_b32_e32 v0, v1, v0, vcc
	s_nop 1
	v_mov_b32_dpp v1, v0 row_shr:2 row_mask:0xf bank_mask:0xf
	v_add_f32_e32 v1, v0, v1
	v_cndmask_b32_e64 v0, v0, v1, s[0:1]
	s_nop 1
	v_mov_b32_dpp v1, v0 row_shr:4 row_mask:0xf bank_mask:0xf
	v_add_f32_e32 v1, v0, v1
	v_cndmask_b32_e64 v0, v0, v1, s[2:3]
	;; [unrolled: 4-line block ×3, first 2 shown]
	s_nop 1
	v_mov_b32_dpp v1, v0 row_bcast:15 row_mask:0xf bank_mask:0xf
	v_add_f32_e32 v1, v0, v1
	v_cndmask_b32_e64 v0, v1, v0, s[6:7]
	s_nop 1
	v_mov_b32_dpp v1, v0 row_bcast:31 row_mask:0xf bank_mask:0xf
	v_add_f32_e32 v1, v0, v1
	v_cndmask_b32_e64 v0, v0, v1, s[8:9]
	s_and_saveexec_b64 s[14:15], s[10:11]
	s_cbranch_execz .LBB119_3
; %bb.2:                                ;   in Loop: Header=BB119_1 Depth=1
	ds_write_b32 v27, v0
.LBB119_3:                              ;   in Loop: Header=BB119_1 Depth=1
	s_or_b64 exec, exec, s[14:15]
	v_add_f32_e32 v0, s20, v0
	ds_bpermute_b32 v0, v28, v0
	v_mov_b32_e32 v1, s20
	s_add_i32 s16, s16, -1
	s_cmp_lg_u32 s16, 0
	s_waitcnt lgkmcnt(0)
	v_cndmask_b32_e64 v18, v0, v1, s[12:13]
	v_add_f32_e32 v19, v10, v18
	v_add_f32_e32 v20, v11, v19
	;; [unrolled: 1-line block ×15, first 2 shown]
	; wave barrier
	s_cbranch_scc0 .LBB119_5
; %bb.4:                                ;   in Loop: Header=BB119_1 Depth=1
	v_mov_b32_e32 v11, v19
	v_mov_b32_e32 v10, v18
	;; [unrolled: 1-line block ×15, first 2 shown]
	s_branch .LBB119_1
.LBB119_5:
	v_mov_b32_e32 v6, s18
	v_mov_b32_e32 v7, s19
	v_lshl_add_u64 v[6:7], v[26:27], 2, v[6:7]
	v_mov_b32_e32 v3, v5
	global_store_dwordx4 v[6:7], v[18:21], off
	global_store_dwordx4 v[6:7], v[12:15], off offset:16
	global_store_dwordx4 v[6:7], v[22:25], off offset:32
	;; [unrolled: 1-line block ×3, first 2 shown]
	s_endpgm
	.section	.rodata,"a",@progbits
	.p2align	6, 0x0
	.amdhsa_kernel _Z6kernelI14exclusive_scanILN6hipcub18BlockScanAlgorithmE1EEfLj64ELj16ELj100EEvPKT0_PS4_S4_
		.amdhsa_group_segment_fixed_size 4
		.amdhsa_private_segment_fixed_size 0
		.amdhsa_kernarg_size 280
		.amdhsa_user_sgpr_count 2
		.amdhsa_user_sgpr_dispatch_ptr 0
		.amdhsa_user_sgpr_queue_ptr 0
		.amdhsa_user_sgpr_kernarg_segment_ptr 1
		.amdhsa_user_sgpr_dispatch_id 0
		.amdhsa_user_sgpr_kernarg_preload_length 0
		.amdhsa_user_sgpr_kernarg_preload_offset 0
		.amdhsa_user_sgpr_private_segment_size 0
		.amdhsa_uses_dynamic_stack 0
		.amdhsa_enable_private_segment 0
		.amdhsa_system_sgpr_workgroup_id_x 1
		.amdhsa_system_sgpr_workgroup_id_y 0
		.amdhsa_system_sgpr_workgroup_id_z 0
		.amdhsa_system_sgpr_workgroup_info 0
		.amdhsa_system_vgpr_workitem_id 0
		.amdhsa_next_free_vgpr 29
		.amdhsa_next_free_sgpr 21
		.amdhsa_accum_offset 32
		.amdhsa_reserve_vcc 1
		.amdhsa_float_round_mode_32 0
		.amdhsa_float_round_mode_16_64 0
		.amdhsa_float_denorm_mode_32 3
		.amdhsa_float_denorm_mode_16_64 3
		.amdhsa_dx10_clamp 1
		.amdhsa_ieee_mode 1
		.amdhsa_fp16_overflow 0
		.amdhsa_tg_split 0
		.amdhsa_exception_fp_ieee_invalid_op 0
		.amdhsa_exception_fp_denorm_src 0
		.amdhsa_exception_fp_ieee_div_zero 0
		.amdhsa_exception_fp_ieee_overflow 0
		.amdhsa_exception_fp_ieee_underflow 0
		.amdhsa_exception_fp_ieee_inexact 0
		.amdhsa_exception_int_div_zero 0
	.end_amdhsa_kernel
	.section	.text._Z6kernelI14exclusive_scanILN6hipcub18BlockScanAlgorithmE1EEfLj64ELj16ELj100EEvPKT0_PS4_S4_,"axG",@progbits,_Z6kernelI14exclusive_scanILN6hipcub18BlockScanAlgorithmE1EEfLj64ELj16ELj100EEvPKT0_PS4_S4_,comdat
.Lfunc_end119:
	.size	_Z6kernelI14exclusive_scanILN6hipcub18BlockScanAlgorithmE1EEfLj64ELj16ELj100EEvPKT0_PS4_S4_, .Lfunc_end119-_Z6kernelI14exclusive_scanILN6hipcub18BlockScanAlgorithmE1EEfLj64ELj16ELj100EEvPKT0_PS4_S4_
                                        ; -- End function
	.section	.AMDGPU.csdata,"",@progbits
; Kernel info:
; codeLenInByte = 676
; NumSgprs: 27
; NumVgprs: 29
; NumAgprs: 0
; TotalNumVgprs: 29
; ScratchSize: 0
; MemoryBound: 0
; FloatMode: 240
; IeeeMode: 1
; LDSByteSize: 4 bytes/workgroup (compile time only)
; SGPRBlocks: 3
; VGPRBlocks: 3
; NumSGPRsForWavesPerEU: 27
; NumVGPRsForWavesPerEU: 29
; AccumOffset: 32
; Occupancy: 8
; WaveLimiterHint : 0
; COMPUTE_PGM_RSRC2:SCRATCH_EN: 0
; COMPUTE_PGM_RSRC2:USER_SGPR: 2
; COMPUTE_PGM_RSRC2:TRAP_HANDLER: 0
; COMPUTE_PGM_RSRC2:TGID_X_EN: 1
; COMPUTE_PGM_RSRC2:TGID_Y_EN: 0
; COMPUTE_PGM_RSRC2:TGID_Z_EN: 0
; COMPUTE_PGM_RSRC2:TIDIG_COMP_CNT: 0
; COMPUTE_PGM_RSRC3_GFX90A:ACCUM_OFFSET: 7
; COMPUTE_PGM_RSRC3_GFX90A:TG_SPLIT: 0
	.section	.text._Z6kernelI14exclusive_scanILN6hipcub18BlockScanAlgorithmE1EEdLj64ELj1ELj100EEvPKT0_PS4_S4_,"axG",@progbits,_Z6kernelI14exclusive_scanILN6hipcub18BlockScanAlgorithmE1EEdLj64ELj1ELj100EEvPKT0_PS4_S4_,comdat
	.protected	_Z6kernelI14exclusive_scanILN6hipcub18BlockScanAlgorithmE1EEdLj64ELj1ELj100EEvPKT0_PS4_S4_ ; -- Begin function _Z6kernelI14exclusive_scanILN6hipcub18BlockScanAlgorithmE1EEdLj64ELj1ELj100EEvPKT0_PS4_S4_
	.globl	_Z6kernelI14exclusive_scanILN6hipcub18BlockScanAlgorithmE1EEdLj64ELj1ELj100EEvPKT0_PS4_S4_
	.p2align	8
	.type	_Z6kernelI14exclusive_scanILN6hipcub18BlockScanAlgorithmE1EEdLj64ELj1ELj100EEvPKT0_PS4_S4_,@function
_Z6kernelI14exclusive_scanILN6hipcub18BlockScanAlgorithmE1EEdLj64ELj1ELj100EEvPKT0_PS4_S4_: ; @_Z6kernelI14exclusive_scanILN6hipcub18BlockScanAlgorithmE1EEdLj64ELj1ELj100EEvPKT0_PS4_S4_
; %bb.0:
	s_load_dwordx4 s[12:15], s[0:1], 0x0
	s_load_dword s3, s[0:1], 0x24
	s_load_dwordx2 s[16:17], s[0:1], 0x10
	v_mov_b32_e32 v3, 0
	v_mbcnt_lo_u32_b32 v1, -1, 0
	s_waitcnt lgkmcnt(0)
	v_mov_b32_e32 v4, s12
	s_and_b32 s0, s3, 0xffff
	s_mul_i32 s2, s2, s0
	v_mov_b32_e32 v5, s13
	v_add_u32_e32 v2, s2, v0
	v_lshl_add_u64 v[4:5], v[2:3], 3, v[4:5]
	global_load_dwordx2 v[4:5], v[4:5], off
	v_mbcnt_hi_u32_b32 v1, -1, v1
	v_and_b32_e32 v6, 15, v1
	v_cmp_eq_u32_e32 vcc, 0, v6
	v_cmp_lt_u32_e64 s[0:1], 1, v6
	v_cmp_lt_u32_e64 s[2:3], 3, v6
	;; [unrolled: 1-line block ×3, first 2 shown]
	v_and_b32_e32 v6, 16, v1
	v_cmp_eq_u32_e64 s[6:7], 0, v6
	v_cmp_eq_u32_e64 s[10:11], 63, v0
	v_add_u32_e32 v0, -1, v1
	v_and_b32_e32 v6, 64, v1
	v_cmp_lt_i32_e64 s[12:13], v0, v6
	v_cmp_eq_u32_e64 s[8:9], 0, v1
	s_movk_i32 s20, 0x64
	v_cndmask_b32_e64 v0, v0, v1, s[12:13]
	v_lshlrev_b32_e32 v6, 2, v0
	v_cmp_lt_u32_e64 s[12:13], 31, v1
	v_mov_b32_e32 v7, s17
	v_mov_b32_e32 v8, s16
	s_branch .LBB120_2
.LBB120_1:                              ;   in Loop: Header=BB120_2 Depth=1
	s_or_b64 exec, exec, s[18:19]
	v_add_f64 v[0:1], v[0:1], s[16:17]
	ds_bpermute_b32 v1, v6, v1
	ds_bpermute_b32 v0, v6, v0
	s_add_i32 s20, s20, -1
	s_cmp_lg_u32 s20, 0
	s_waitcnt lgkmcnt(0)
	v_cndmask_b32_e64 v5, v1, v7, s[8:9]
	v_cndmask_b32_e64 v4, v0, v8, s[8:9]
	; wave barrier
	s_cbranch_scc0 .LBB120_4
.LBB120_2:                              ; =>This Inner Loop Header: Depth=1
	s_waitcnt vmcnt(0)
	v_mov_b32_dpp v0, v4 row_shr:1 row_mask:0xf bank_mask:0xf
	v_mov_b32_dpp v1, v5 row_shr:1 row_mask:0xf bank_mask:0xf
	v_add_f64 v[0:1], v[4:5], v[0:1]
	v_cndmask_b32_e32 v0, v0, v4, vcc
	v_cndmask_b32_e32 v1, v1, v5, vcc
	s_nop 0
	v_mov_b32_dpp v10, v0 row_shr:2 row_mask:0xf bank_mask:0xf
	v_mov_b32_dpp v11, v1 row_shr:2 row_mask:0xf bank_mask:0xf
	v_add_f64 v[10:11], v[0:1], v[10:11]
	v_cndmask_b32_e64 v0, v0, v10, s[0:1]
	v_cndmask_b32_e64 v1, v1, v11, s[0:1]
	s_nop 0
	v_mov_b32_dpp v10, v0 row_shr:4 row_mask:0xf bank_mask:0xf
	v_mov_b32_dpp v11, v1 row_shr:4 row_mask:0xf bank_mask:0xf
	v_add_f64 v[10:11], v[0:1], v[10:11]
	v_cndmask_b32_e64 v0, v0, v10, s[2:3]
	v_cndmask_b32_e64 v1, v1, v11, s[2:3]
	;; [unrolled: 6-line block ×3, first 2 shown]
	s_nop 0
	v_mov_b32_dpp v10, v0 row_bcast:15 row_mask:0xf bank_mask:0xf
	v_mov_b32_dpp v11, v1 row_bcast:15 row_mask:0xf bank_mask:0xf
	v_add_f64 v[10:11], v[0:1], v[10:11]
	v_cndmask_b32_e64 v0, v10, v0, s[6:7]
	v_cndmask_b32_e64 v1, v11, v1, s[6:7]
	s_nop 0
	v_mov_b32_dpp v10, v0 row_bcast:31 row_mask:0xf bank_mask:0xf
	v_mov_b32_dpp v11, v1 row_bcast:31 row_mask:0xf bank_mask:0xf
	v_add_f64 v[10:11], v[0:1], v[10:11]
	v_cndmask_b32_e64 v0, v0, v10, s[12:13]
	v_cndmask_b32_e64 v1, v1, v11, s[12:13]
	;; [unrolled: 1-line block ×4, first 2 shown]
	s_and_saveexec_b64 s[18:19], s[10:11]
	s_cbranch_execz .LBB120_1
; %bb.3:                                ;   in Loop: Header=BB120_2 Depth=1
	ds_write_b64 v3, v[0:1]
	s_branch .LBB120_1
.LBB120_4:
	v_mov_b32_e32 v0, s14
	v_mov_b32_e32 v1, s15
	v_lshl_add_u64 v[0:1], v[2:3], 3, v[0:1]
	global_store_dwordx2 v[0:1], v[4:5], off
	s_endpgm
	.section	.rodata,"a",@progbits
	.p2align	6, 0x0
	.amdhsa_kernel _Z6kernelI14exclusive_scanILN6hipcub18BlockScanAlgorithmE1EEdLj64ELj1ELj100EEvPKT0_PS4_S4_
		.amdhsa_group_segment_fixed_size 8
		.amdhsa_private_segment_fixed_size 0
		.amdhsa_kernarg_size 280
		.amdhsa_user_sgpr_count 2
		.amdhsa_user_sgpr_dispatch_ptr 0
		.amdhsa_user_sgpr_queue_ptr 0
		.amdhsa_user_sgpr_kernarg_segment_ptr 1
		.amdhsa_user_sgpr_dispatch_id 0
		.amdhsa_user_sgpr_kernarg_preload_length 0
		.amdhsa_user_sgpr_kernarg_preload_offset 0
		.amdhsa_user_sgpr_private_segment_size 0
		.amdhsa_uses_dynamic_stack 0
		.amdhsa_enable_private_segment 0
		.amdhsa_system_sgpr_workgroup_id_x 1
		.amdhsa_system_sgpr_workgroup_id_y 0
		.amdhsa_system_sgpr_workgroup_id_z 0
		.amdhsa_system_sgpr_workgroup_info 0
		.amdhsa_system_vgpr_workitem_id 0
		.amdhsa_next_free_vgpr 12
		.amdhsa_next_free_sgpr 21
		.amdhsa_accum_offset 12
		.amdhsa_reserve_vcc 1
		.amdhsa_float_round_mode_32 0
		.amdhsa_float_round_mode_16_64 0
		.amdhsa_float_denorm_mode_32 3
		.amdhsa_float_denorm_mode_16_64 3
		.amdhsa_dx10_clamp 1
		.amdhsa_ieee_mode 1
		.amdhsa_fp16_overflow 0
		.amdhsa_tg_split 0
		.amdhsa_exception_fp_ieee_invalid_op 0
		.amdhsa_exception_fp_denorm_src 0
		.amdhsa_exception_fp_ieee_div_zero 0
		.amdhsa_exception_fp_ieee_overflow 0
		.amdhsa_exception_fp_ieee_underflow 0
		.amdhsa_exception_fp_ieee_inexact 0
		.amdhsa_exception_int_div_zero 0
	.end_amdhsa_kernel
	.section	.text._Z6kernelI14exclusive_scanILN6hipcub18BlockScanAlgorithmE1EEdLj64ELj1ELj100EEvPKT0_PS4_S4_,"axG",@progbits,_Z6kernelI14exclusive_scanILN6hipcub18BlockScanAlgorithmE1EEdLj64ELj1ELj100EEvPKT0_PS4_S4_,comdat
.Lfunc_end120:
	.size	_Z6kernelI14exclusive_scanILN6hipcub18BlockScanAlgorithmE1EEdLj64ELj1ELj100EEvPKT0_PS4_S4_, .Lfunc_end120-_Z6kernelI14exclusive_scanILN6hipcub18BlockScanAlgorithmE1EEdLj64ELj1ELj100EEvPKT0_PS4_S4_
                                        ; -- End function
	.section	.AMDGPU.csdata,"",@progbits
; Kernel info:
; codeLenInByte = 580
; NumSgprs: 27
; NumVgprs: 12
; NumAgprs: 0
; TotalNumVgprs: 12
; ScratchSize: 0
; MemoryBound: 0
; FloatMode: 240
; IeeeMode: 1
; LDSByteSize: 8 bytes/workgroup (compile time only)
; SGPRBlocks: 3
; VGPRBlocks: 1
; NumSGPRsForWavesPerEU: 27
; NumVGPRsForWavesPerEU: 12
; AccumOffset: 12
; Occupancy: 8
; WaveLimiterHint : 0
; COMPUTE_PGM_RSRC2:SCRATCH_EN: 0
; COMPUTE_PGM_RSRC2:USER_SGPR: 2
; COMPUTE_PGM_RSRC2:TRAP_HANDLER: 0
; COMPUTE_PGM_RSRC2:TGID_X_EN: 1
; COMPUTE_PGM_RSRC2:TGID_Y_EN: 0
; COMPUTE_PGM_RSRC2:TGID_Z_EN: 0
; COMPUTE_PGM_RSRC2:TIDIG_COMP_CNT: 0
; COMPUTE_PGM_RSRC3_GFX90A:ACCUM_OFFSET: 2
; COMPUTE_PGM_RSRC3_GFX90A:TG_SPLIT: 0
	.section	.text._Z6kernelI14exclusive_scanILN6hipcub18BlockScanAlgorithmE1EEdLj64ELj3ELj100EEvPKT0_PS4_S4_,"axG",@progbits,_Z6kernelI14exclusive_scanILN6hipcub18BlockScanAlgorithmE1EEdLj64ELj3ELj100EEvPKT0_PS4_S4_,comdat
	.protected	_Z6kernelI14exclusive_scanILN6hipcub18BlockScanAlgorithmE1EEdLj64ELj3ELj100EEvPKT0_PS4_S4_ ; -- Begin function _Z6kernelI14exclusive_scanILN6hipcub18BlockScanAlgorithmE1EEdLj64ELj3ELj100EEvPKT0_PS4_S4_
	.globl	_Z6kernelI14exclusive_scanILN6hipcub18BlockScanAlgorithmE1EEdLj64ELj3ELj100EEvPKT0_PS4_S4_
	.p2align	8
	.type	_Z6kernelI14exclusive_scanILN6hipcub18BlockScanAlgorithmE1EEdLj64ELj3ELj100EEvPKT0_PS4_S4_,@function
_Z6kernelI14exclusive_scanILN6hipcub18BlockScanAlgorithmE1EEdLj64ELj3ELj100EEvPKT0_PS4_S4_: ; @_Z6kernelI14exclusive_scanILN6hipcub18BlockScanAlgorithmE1EEdLj64ELj3ELj100EEvPKT0_PS4_S4_
; %bb.0:
	s_load_dword s3, s[0:1], 0x24
	s_load_dwordx4 s[16:19], s[0:1], 0x0
	s_load_dwordx2 s[20:21], s[0:1], 0x10
	v_mov_b32_e32 v3, 0
	v_mov_b32_e32 v5, v3
	s_waitcnt lgkmcnt(0)
	s_and_b32 s0, s3, 0xffff
	s_mul_i32 s2, s2, s0
	v_add_u32_e32 v1, s2, v0
	v_lshl_add_u32 v2, v1, 1, v1
	v_lshl_add_u64 v[14:15], v[2:3], 3, s[16:17]
	v_add_u32_e32 v4, 1, v2
	v_add_u32_e32 v6, 2, v2
	v_mov_b32_e32 v7, v3
	v_lshl_add_u64 v[16:17], v[4:5], 3, s[16:17]
	v_lshl_add_u64 v[18:19], v[6:7], 3, s[16:17]
	global_load_dwordx2 v[10:11], v[14:15], off
	global_load_dwordx2 v[8:9], v[16:17], off
	;; [unrolled: 1-line block ×3, first 2 shown]
	v_mbcnt_lo_u32_b32 v1, -1, 0
	v_mbcnt_hi_u32_b32 v1, -1, v1
	v_and_b32_e32 v14, 15, v1
	v_cmp_eq_u32_e32 vcc, 0, v14
	v_cmp_lt_u32_e64 s[0:1], 1, v14
	v_cmp_lt_u32_e64 s[2:3], 3, v14
	;; [unrolled: 1-line block ×3, first 2 shown]
	v_and_b32_e32 v14, 16, v1
	v_cmp_eq_u32_e64 s[6:7], 0, v14
	v_add_u32_e32 v14, -1, v1
	v_and_b32_e32 v15, 64, v1
	v_cmp_lt_i32_e64 s[12:13], v14, v15
	v_cmp_eq_u32_e64 s[8:9], 0, v1
	v_cmp_eq_u32_e64 s[10:11], 63, v0
	v_cndmask_b32_e64 v14, v14, v1, s[12:13]
	v_cmp_eq_u32_e64 s[12:13], 0, v0
	v_lshlrev_b32_e32 v16, 2, v14
	s_or_b64 s[12:13], s[12:13], s[8:9]
	v_cmp_lt_u32_e64 s[14:15], 31, v1
	s_movk_i32 s22, 0x64
	v_mov_b32_e32 v17, s21
	v_mov_b32_e32 v18, s20
.LBB121_1:                              ; =>This Inner Loop Header: Depth=1
	s_waitcnt vmcnt(1)
	v_add_f64 v[0:1], v[10:11], v[8:9]
	s_waitcnt vmcnt(0)
	v_add_f64 v[0:1], v[12:13], v[0:1]
	s_nop 1
	v_mov_b32_dpp v12, v0 row_shr:1 row_mask:0xf bank_mask:0xf
	v_mov_b32_dpp v13, v1 row_shr:1 row_mask:0xf bank_mask:0xf
	v_add_f64 v[12:13], v[0:1], v[12:13]
	v_cndmask_b32_e32 v12, v12, v0, vcc
	v_cndmask_b32_e32 v13, v13, v1, vcc
	s_nop 0
	v_mov_b32_dpp v14, v12 row_shr:2 row_mask:0xf bank_mask:0xf
	v_mov_b32_dpp v15, v13 row_shr:2 row_mask:0xf bank_mask:0xf
	v_add_f64 v[14:15], v[12:13], v[14:15]
	v_cndmask_b32_e64 v12, v12, v14, s[0:1]
	v_cndmask_b32_e64 v13, v13, v15, s[0:1]
	s_nop 0
	v_mov_b32_dpp v14, v12 row_shr:4 row_mask:0xf bank_mask:0xf
	v_mov_b32_dpp v15, v13 row_shr:4 row_mask:0xf bank_mask:0xf
	v_add_f64 v[14:15], v[12:13], v[14:15]
	v_cndmask_b32_e64 v12, v12, v14, s[2:3]
	v_cndmask_b32_e64 v13, v13, v15, s[2:3]
	;; [unrolled: 6-line block ×3, first 2 shown]
	s_nop 0
	v_mov_b32_dpp v14, v12 row_bcast:15 row_mask:0xf bank_mask:0xf
	v_mov_b32_dpp v15, v13 row_bcast:15 row_mask:0xf bank_mask:0xf
	v_add_f64 v[14:15], v[12:13], v[14:15]
	v_cndmask_b32_e64 v12, v14, v12, s[6:7]
	v_cndmask_b32_e64 v13, v15, v13, s[6:7]
	s_nop 0
	v_mov_b32_dpp v14, v12 row_bcast:31 row_mask:0xf bank_mask:0xf
	v_mov_b32_dpp v15, v13 row_bcast:31 row_mask:0xf bank_mask:0xf
	v_add_f64 v[14:15], v[12:13], v[14:15]
	v_cndmask_b32_e64 v12, v12, v14, s[14:15]
	v_cndmask_b32_e64 v13, v13, v15, s[14:15]
	;; [unrolled: 1-line block ×4, first 2 shown]
	s_and_saveexec_b64 s[16:17], s[10:11]
	s_cbranch_execz .LBB121_3
; %bb.2:                                ;   in Loop: Header=BB121_1 Depth=1
	ds_write_b64 v3, v[0:1]
.LBB121_3:                              ;   in Loop: Header=BB121_1 Depth=1
	s_or_b64 exec, exec, s[16:17]
	v_add_f64 v[0:1], v[0:1], s[20:21]
	ds_bpermute_b32 v1, v16, v1
	ds_bpermute_b32 v0, v16, v0
	s_add_i32 s22, s22, -1
	s_cmp_lg_u32 s22, 0
	s_waitcnt lgkmcnt(0)
	v_cndmask_b32_e64 v1, v1, v17, s[12:13]
	v_cndmask_b32_e64 v0, v0, v18, s[12:13]
	v_add_f64 v[14:15], v[10:11], v[0:1]
	v_add_f64 v[12:13], v[8:9], v[14:15]
	; wave barrier
	s_cbranch_scc0 .LBB121_5
; %bb.4:                                ;   in Loop: Header=BB121_1 Depth=1
	v_mov_b64_e32 v[10:11], v[0:1]
	v_mov_b64_e32 v[8:9], v[14:15]
	s_branch .LBB121_1
.LBB121_5:
	v_lshl_add_u64 v[2:3], v[2:3], 3, s[18:19]
	global_store_dwordx2 v[2:3], v[0:1], off
	v_lshl_add_u64 v[0:1], v[4:5], 3, s[18:19]
	global_store_dwordx2 v[0:1], v[14:15], off
	;; [unrolled: 2-line block ×3, first 2 shown]
	s_endpgm
	.section	.rodata,"a",@progbits
	.p2align	6, 0x0
	.amdhsa_kernel _Z6kernelI14exclusive_scanILN6hipcub18BlockScanAlgorithmE1EEdLj64ELj3ELj100EEvPKT0_PS4_S4_
		.amdhsa_group_segment_fixed_size 8
		.amdhsa_private_segment_fixed_size 0
		.amdhsa_kernarg_size 280
		.amdhsa_user_sgpr_count 2
		.amdhsa_user_sgpr_dispatch_ptr 0
		.amdhsa_user_sgpr_queue_ptr 0
		.amdhsa_user_sgpr_kernarg_segment_ptr 1
		.amdhsa_user_sgpr_dispatch_id 0
		.amdhsa_user_sgpr_kernarg_preload_length 0
		.amdhsa_user_sgpr_kernarg_preload_offset 0
		.amdhsa_user_sgpr_private_segment_size 0
		.amdhsa_uses_dynamic_stack 0
		.amdhsa_enable_private_segment 0
		.amdhsa_system_sgpr_workgroup_id_x 1
		.amdhsa_system_sgpr_workgroup_id_y 0
		.amdhsa_system_sgpr_workgroup_id_z 0
		.amdhsa_system_sgpr_workgroup_info 0
		.amdhsa_system_vgpr_workitem_id 0
		.amdhsa_next_free_vgpr 20
		.amdhsa_next_free_sgpr 23
		.amdhsa_accum_offset 20
		.amdhsa_reserve_vcc 1
		.amdhsa_float_round_mode_32 0
		.amdhsa_float_round_mode_16_64 0
		.amdhsa_float_denorm_mode_32 3
		.amdhsa_float_denorm_mode_16_64 3
		.amdhsa_dx10_clamp 1
		.amdhsa_ieee_mode 1
		.amdhsa_fp16_overflow 0
		.amdhsa_tg_split 0
		.amdhsa_exception_fp_ieee_invalid_op 0
		.amdhsa_exception_fp_denorm_src 0
		.amdhsa_exception_fp_ieee_div_zero 0
		.amdhsa_exception_fp_ieee_overflow 0
		.amdhsa_exception_fp_ieee_underflow 0
		.amdhsa_exception_fp_ieee_inexact 0
		.amdhsa_exception_int_div_zero 0
	.end_amdhsa_kernel
	.section	.text._Z6kernelI14exclusive_scanILN6hipcub18BlockScanAlgorithmE1EEdLj64ELj3ELj100EEvPKT0_PS4_S4_,"axG",@progbits,_Z6kernelI14exclusive_scanILN6hipcub18BlockScanAlgorithmE1EEdLj64ELj3ELj100EEvPKT0_PS4_S4_,comdat
.Lfunc_end121:
	.size	_Z6kernelI14exclusive_scanILN6hipcub18BlockScanAlgorithmE1EEdLj64ELj3ELj100EEvPKT0_PS4_S4_, .Lfunc_end121-_Z6kernelI14exclusive_scanILN6hipcub18BlockScanAlgorithmE1EEdLj64ELj3ELj100EEvPKT0_PS4_S4_
                                        ; -- End function
	.section	.AMDGPU.csdata,"",@progbits
; Kernel info:
; codeLenInByte = 708
; NumSgprs: 29
; NumVgprs: 20
; NumAgprs: 0
; TotalNumVgprs: 20
; ScratchSize: 0
; MemoryBound: 0
; FloatMode: 240
; IeeeMode: 1
; LDSByteSize: 8 bytes/workgroup (compile time only)
; SGPRBlocks: 3
; VGPRBlocks: 2
; NumSGPRsForWavesPerEU: 29
; NumVGPRsForWavesPerEU: 20
; AccumOffset: 20
; Occupancy: 8
; WaveLimiterHint : 0
; COMPUTE_PGM_RSRC2:SCRATCH_EN: 0
; COMPUTE_PGM_RSRC2:USER_SGPR: 2
; COMPUTE_PGM_RSRC2:TRAP_HANDLER: 0
; COMPUTE_PGM_RSRC2:TGID_X_EN: 1
; COMPUTE_PGM_RSRC2:TGID_Y_EN: 0
; COMPUTE_PGM_RSRC2:TGID_Z_EN: 0
; COMPUTE_PGM_RSRC2:TIDIG_COMP_CNT: 0
; COMPUTE_PGM_RSRC3_GFX90A:ACCUM_OFFSET: 4
; COMPUTE_PGM_RSRC3_GFX90A:TG_SPLIT: 0
	.section	.text._Z6kernelI14exclusive_scanILN6hipcub18BlockScanAlgorithmE1EEdLj64ELj4ELj100EEvPKT0_PS4_S4_,"axG",@progbits,_Z6kernelI14exclusive_scanILN6hipcub18BlockScanAlgorithmE1EEdLj64ELj4ELj100EEvPKT0_PS4_S4_,comdat
	.protected	_Z6kernelI14exclusive_scanILN6hipcub18BlockScanAlgorithmE1EEdLj64ELj4ELj100EEvPKT0_PS4_S4_ ; -- Begin function _Z6kernelI14exclusive_scanILN6hipcub18BlockScanAlgorithmE1EEdLj64ELj4ELj100EEvPKT0_PS4_S4_
	.globl	_Z6kernelI14exclusive_scanILN6hipcub18BlockScanAlgorithmE1EEdLj64ELj4ELj100EEvPKT0_PS4_S4_
	.p2align	8
	.type	_Z6kernelI14exclusive_scanILN6hipcub18BlockScanAlgorithmE1EEdLj64ELj4ELj100EEvPKT0_PS4_S4_,@function
_Z6kernelI14exclusive_scanILN6hipcub18BlockScanAlgorithmE1EEdLj64ELj4ELj100EEvPKT0_PS4_S4_: ; @_Z6kernelI14exclusive_scanILN6hipcub18BlockScanAlgorithmE1EEdLj64ELj4ELj100EEvPKT0_PS4_S4_
; %bb.0:
	s_load_dwordx4 s[16:19], s[0:1], 0x0
	s_load_dword s3, s[0:1], 0x24
	s_load_dwordx2 s[20:21], s[0:1], 0x10
	v_mov_b32_e32 v15, 0
	v_mbcnt_lo_u32_b32 v1, -1, 0
	s_waitcnt lgkmcnt(0)
	v_mov_b32_e32 v2, s16
	s_and_b32 s0, s3, 0xffff
	s_mul_i32 s2, s2, s0
	v_mov_b32_e32 v3, s17
	v_add_lshl_u32 v14, s2, v0, 2
	v_lshl_add_u64 v[10:11], v[14:15], 3, v[2:3]
	global_load_dwordx4 v[2:5], v[10:11], off offset:16
	global_load_dwordx4 v[6:9], v[10:11], off
	v_mbcnt_hi_u32_b32 v1, -1, v1
	v_and_b32_e32 v10, 15, v1
	v_cmp_eq_u32_e32 vcc, 0, v10
	v_cmp_lt_u32_e64 s[0:1], 1, v10
	v_cmp_lt_u32_e64 s[2:3], 3, v10
	;; [unrolled: 1-line block ×3, first 2 shown]
	v_and_b32_e32 v10, 16, v1
	v_cmp_eq_u32_e64 s[6:7], 0, v10
	v_add_u32_e32 v10, -1, v1
	v_and_b32_e32 v11, 64, v1
	v_cmp_lt_i32_e64 s[12:13], v10, v11
	v_cmp_eq_u32_e64 s[8:9], 0, v1
	v_cmp_eq_u32_e64 s[10:11], 63, v0
	v_cndmask_b32_e64 v10, v10, v1, s[12:13]
	v_cmp_eq_u32_e64 s[12:13], 0, v0
	v_lshlrev_b32_e32 v16, 2, v10
	s_or_b64 s[12:13], s[12:13], s[8:9]
	v_cmp_lt_u32_e64 s[14:15], 31, v1
	s_movk_i32 s22, 0x64
.LBB122_1:                              ; =>This Inner Loop Header: Depth=1
	s_waitcnt vmcnt(0)
	v_add_f64 v[0:1], v[6:7], v[8:9]
	v_add_f64 v[0:1], v[2:3], v[0:1]
	;; [unrolled: 1-line block ×3, first 2 shown]
	s_nop 1
	v_mov_b32_dpp v4, v0 row_shr:1 row_mask:0xf bank_mask:0xf
	v_mov_b32_dpp v5, v1 row_shr:1 row_mask:0xf bank_mask:0xf
	v_add_f64 v[4:5], v[0:1], v[4:5]
	v_cndmask_b32_e32 v4, v4, v0, vcc
	v_cndmask_b32_e32 v5, v5, v1, vcc
	s_nop 0
	v_mov_b32_dpp v10, v4 row_shr:2 row_mask:0xf bank_mask:0xf
	v_mov_b32_dpp v11, v5 row_shr:2 row_mask:0xf bank_mask:0xf
	v_add_f64 v[10:11], v[4:5], v[10:11]
	v_cndmask_b32_e64 v4, v4, v10, s[0:1]
	v_cndmask_b32_e64 v5, v5, v11, s[0:1]
	s_nop 0
	v_mov_b32_dpp v10, v4 row_shr:4 row_mask:0xf bank_mask:0xf
	v_mov_b32_dpp v11, v5 row_shr:4 row_mask:0xf bank_mask:0xf
	v_add_f64 v[10:11], v[4:5], v[10:11]
	v_cndmask_b32_e64 v4, v4, v10, s[2:3]
	v_cndmask_b32_e64 v5, v5, v11, s[2:3]
	;; [unrolled: 6-line block ×3, first 2 shown]
	s_nop 0
	v_mov_b32_dpp v10, v4 row_bcast:15 row_mask:0xf bank_mask:0xf
	v_mov_b32_dpp v11, v5 row_bcast:15 row_mask:0xf bank_mask:0xf
	v_add_f64 v[10:11], v[4:5], v[10:11]
	v_cndmask_b32_e64 v4, v10, v4, s[6:7]
	v_cndmask_b32_e64 v5, v11, v5, s[6:7]
	s_nop 0
	v_mov_b32_dpp v10, v4 row_bcast:31 row_mask:0xf bank_mask:0xf
	v_mov_b32_dpp v11, v5 row_bcast:31 row_mask:0xf bank_mask:0xf
	v_add_f64 v[10:11], v[4:5], v[10:11]
	v_cndmask_b32_e64 v4, v4, v10, s[14:15]
	v_cndmask_b32_e64 v5, v5, v11, s[14:15]
	;; [unrolled: 1-line block ×4, first 2 shown]
	s_and_saveexec_b64 s[16:17], s[10:11]
	s_cbranch_execz .LBB122_3
; %bb.2:                                ;   in Loop: Header=BB122_1 Depth=1
	ds_write_b64 v15, v[0:1]
.LBB122_3:                              ;   in Loop: Header=BB122_1 Depth=1
	s_or_b64 exec, exec, s[16:17]
	v_add_f64 v[0:1], v[0:1], s[20:21]
	ds_bpermute_b32 v1, v16, v1
	ds_bpermute_b32 v0, v16, v0
	v_mov_b32_e32 v4, s21
	s_add_i32 s22, s22, -1
	s_cmp_lg_u32 s22, 0
	s_waitcnt lgkmcnt(1)
	v_cndmask_b32_e64 v11, v1, v4, s[12:13]
	v_mov_b32_e32 v1, s20
	s_waitcnt lgkmcnt(0)
	v_cndmask_b32_e64 v10, v0, v1, s[12:13]
	v_add_f64 v[12:13], v[6:7], v[10:11]
	v_add_f64 v[0:1], v[8:9], v[12:13]
	;; [unrolled: 1-line block ×3, first 2 shown]
	s_waitcnt lgkmcnt(0)
	; wave barrier
	s_cbranch_scc0 .LBB122_5
; %bb.4:                                ;   in Loop: Header=BB122_1 Depth=1
	v_mov_b64_e32 v[6:7], v[10:11]
	v_mov_b64_e32 v[8:9], v[12:13]
	;; [unrolled: 1-line block ×3, first 2 shown]
	s_branch .LBB122_1
.LBB122_5:
	v_mov_b32_e32 v2, s18
	v_mov_b32_e32 v3, s19
	v_lshl_add_u64 v[6:7], v[14:15], 3, v[2:3]
	v_mov_b32_e32 v2, v4
	v_mov_b32_e32 v3, v5
	global_store_dwordx4 v[6:7], v[10:13], off
	global_store_dwordx4 v[6:7], v[0:3], off offset:16
	s_endpgm
	.section	.rodata,"a",@progbits
	.p2align	6, 0x0
	.amdhsa_kernel _Z6kernelI14exclusive_scanILN6hipcub18BlockScanAlgorithmE1EEdLj64ELj4ELj100EEvPKT0_PS4_S4_
		.amdhsa_group_segment_fixed_size 8
		.amdhsa_private_segment_fixed_size 0
		.amdhsa_kernarg_size 280
		.amdhsa_user_sgpr_count 2
		.amdhsa_user_sgpr_dispatch_ptr 0
		.amdhsa_user_sgpr_queue_ptr 0
		.amdhsa_user_sgpr_kernarg_segment_ptr 1
		.amdhsa_user_sgpr_dispatch_id 0
		.amdhsa_user_sgpr_kernarg_preload_length 0
		.amdhsa_user_sgpr_kernarg_preload_offset 0
		.amdhsa_user_sgpr_private_segment_size 0
		.amdhsa_uses_dynamic_stack 0
		.amdhsa_enable_private_segment 0
		.amdhsa_system_sgpr_workgroup_id_x 1
		.amdhsa_system_sgpr_workgroup_id_y 0
		.amdhsa_system_sgpr_workgroup_id_z 0
		.amdhsa_system_sgpr_workgroup_info 0
		.amdhsa_system_vgpr_workitem_id 0
		.amdhsa_next_free_vgpr 17
		.amdhsa_next_free_sgpr 23
		.amdhsa_accum_offset 20
		.amdhsa_reserve_vcc 1
		.amdhsa_float_round_mode_32 0
		.amdhsa_float_round_mode_16_64 0
		.amdhsa_float_denorm_mode_32 3
		.amdhsa_float_denorm_mode_16_64 3
		.amdhsa_dx10_clamp 1
		.amdhsa_ieee_mode 1
		.amdhsa_fp16_overflow 0
		.amdhsa_tg_split 0
		.amdhsa_exception_fp_ieee_invalid_op 0
		.amdhsa_exception_fp_denorm_src 0
		.amdhsa_exception_fp_ieee_div_zero 0
		.amdhsa_exception_fp_ieee_overflow 0
		.amdhsa_exception_fp_ieee_underflow 0
		.amdhsa_exception_fp_ieee_inexact 0
		.amdhsa_exception_int_div_zero 0
	.end_amdhsa_kernel
	.section	.text._Z6kernelI14exclusive_scanILN6hipcub18BlockScanAlgorithmE1EEdLj64ELj4ELj100EEvPKT0_PS4_S4_,"axG",@progbits,_Z6kernelI14exclusive_scanILN6hipcub18BlockScanAlgorithmE1EEdLj64ELj4ELj100EEvPKT0_PS4_S4_,comdat
.Lfunc_end122:
	.size	_Z6kernelI14exclusive_scanILN6hipcub18BlockScanAlgorithmE1EEdLj64ELj4ELj100EEvPKT0_PS4_S4_, .Lfunc_end122-_Z6kernelI14exclusive_scanILN6hipcub18BlockScanAlgorithmE1EEdLj64ELj4ELj100EEvPKT0_PS4_S4_
                                        ; -- End function
	.section	.AMDGPU.csdata,"",@progbits
; Kernel info:
; codeLenInByte = 688
; NumSgprs: 29
; NumVgprs: 17
; NumAgprs: 0
; TotalNumVgprs: 17
; ScratchSize: 0
; MemoryBound: 0
; FloatMode: 240
; IeeeMode: 1
; LDSByteSize: 8 bytes/workgroup (compile time only)
; SGPRBlocks: 3
; VGPRBlocks: 2
; NumSGPRsForWavesPerEU: 29
; NumVGPRsForWavesPerEU: 17
; AccumOffset: 20
; Occupancy: 8
; WaveLimiterHint : 0
; COMPUTE_PGM_RSRC2:SCRATCH_EN: 0
; COMPUTE_PGM_RSRC2:USER_SGPR: 2
; COMPUTE_PGM_RSRC2:TRAP_HANDLER: 0
; COMPUTE_PGM_RSRC2:TGID_X_EN: 1
; COMPUTE_PGM_RSRC2:TGID_Y_EN: 0
; COMPUTE_PGM_RSRC2:TGID_Z_EN: 0
; COMPUTE_PGM_RSRC2:TIDIG_COMP_CNT: 0
; COMPUTE_PGM_RSRC3_GFX90A:ACCUM_OFFSET: 4
; COMPUTE_PGM_RSRC3_GFX90A:TG_SPLIT: 0
	.section	.text._Z6kernelI14exclusive_scanILN6hipcub18BlockScanAlgorithmE1EEdLj64ELj8ELj100EEvPKT0_PS4_S4_,"axG",@progbits,_Z6kernelI14exclusive_scanILN6hipcub18BlockScanAlgorithmE1EEdLj64ELj8ELj100EEvPKT0_PS4_S4_,comdat
	.protected	_Z6kernelI14exclusive_scanILN6hipcub18BlockScanAlgorithmE1EEdLj64ELj8ELj100EEvPKT0_PS4_S4_ ; -- Begin function _Z6kernelI14exclusive_scanILN6hipcub18BlockScanAlgorithmE1EEdLj64ELj8ELj100EEvPKT0_PS4_S4_
	.globl	_Z6kernelI14exclusive_scanILN6hipcub18BlockScanAlgorithmE1EEdLj64ELj8ELj100EEvPKT0_PS4_S4_
	.p2align	8
	.type	_Z6kernelI14exclusive_scanILN6hipcub18BlockScanAlgorithmE1EEdLj64ELj8ELj100EEvPKT0_PS4_S4_,@function
_Z6kernelI14exclusive_scanILN6hipcub18BlockScanAlgorithmE1EEdLj64ELj8ELj100EEvPKT0_PS4_S4_: ; @_Z6kernelI14exclusive_scanILN6hipcub18BlockScanAlgorithmE1EEdLj64ELj8ELj100EEvPKT0_PS4_S4_
; %bb.0:
	s_load_dwordx4 s[16:19], s[0:1], 0x0
	s_load_dword s3, s[0:1], 0x24
	s_load_dwordx2 s[20:21], s[0:1], 0x10
	v_mov_b32_e32 v23, 0
	v_mbcnt_lo_u32_b32 v1, -1, 0
	s_waitcnt lgkmcnt(0)
	v_mov_b32_e32 v2, s16
	s_and_b32 s0, s3, 0xffff
	s_mul_i32 s2, s2, s0
	v_mov_b32_e32 v3, s17
	v_add_lshl_u32 v22, s2, v0, 3
	v_lshl_add_u64 v[18:19], v[22:23], 3, v[2:3]
	global_load_dwordx4 v[2:5], v[18:19], off offset:48
	global_load_dwordx4 v[6:9], v[18:19], off offset:32
	global_load_dwordx4 v[10:13], v[18:19], off offset:16
	global_load_dwordx4 v[14:17], v[18:19], off
	v_mbcnt_hi_u32_b32 v1, -1, v1
	v_and_b32_e32 v18, 15, v1
	v_cmp_eq_u32_e32 vcc, 0, v18
	v_cmp_lt_u32_e64 s[0:1], 1, v18
	v_cmp_lt_u32_e64 s[2:3], 3, v18
	;; [unrolled: 1-line block ×3, first 2 shown]
	v_and_b32_e32 v18, 16, v1
	v_cmp_eq_u32_e64 s[6:7], 0, v18
	v_add_u32_e32 v18, -1, v1
	v_and_b32_e32 v19, 64, v1
	v_cmp_lt_i32_e64 s[12:13], v18, v19
	v_cmp_eq_u32_e64 s[8:9], 0, v1
	v_cmp_eq_u32_e64 s[10:11], 63, v0
	v_cndmask_b32_e64 v18, v18, v1, s[12:13]
	v_cmp_eq_u32_e64 s[12:13], 0, v0
	v_lshlrev_b32_e32 v24, 2, v18
	s_or_b64 s[12:13], s[12:13], s[8:9]
	v_cmp_lt_u32_e64 s[14:15], 31, v1
	s_movk_i32 s22, 0x64
.LBB123_1:                              ; =>This Inner Loop Header: Depth=1
	s_waitcnt vmcnt(0)
	v_add_f64 v[0:1], v[16:17], v[14:15]
	v_add_f64 v[0:1], v[10:11], v[0:1]
	;; [unrolled: 1-line block ×7, first 2 shown]
	s_nop 1
	v_mov_b32_dpp v4, v0 row_shr:1 row_mask:0xf bank_mask:0xf
	v_mov_b32_dpp v5, v1 row_shr:1 row_mask:0xf bank_mask:0xf
	v_add_f64 v[4:5], v[0:1], v[4:5]
	v_cndmask_b32_e32 v4, v4, v0, vcc
	v_cndmask_b32_e32 v5, v5, v1, vcc
	s_nop 0
	v_mov_b32_dpp v18, v4 row_shr:2 row_mask:0xf bank_mask:0xf
	v_mov_b32_dpp v19, v5 row_shr:2 row_mask:0xf bank_mask:0xf
	v_add_f64 v[18:19], v[4:5], v[18:19]
	v_cndmask_b32_e64 v4, v4, v18, s[0:1]
	v_cndmask_b32_e64 v5, v5, v19, s[0:1]
	s_nop 0
	v_mov_b32_dpp v18, v4 row_shr:4 row_mask:0xf bank_mask:0xf
	v_mov_b32_dpp v19, v5 row_shr:4 row_mask:0xf bank_mask:0xf
	v_add_f64 v[18:19], v[4:5], v[18:19]
	v_cndmask_b32_e64 v4, v4, v18, s[2:3]
	v_cndmask_b32_e64 v5, v5, v19, s[2:3]
	;; [unrolled: 6-line block ×3, first 2 shown]
	s_nop 0
	v_mov_b32_dpp v18, v4 row_bcast:15 row_mask:0xf bank_mask:0xf
	v_mov_b32_dpp v19, v5 row_bcast:15 row_mask:0xf bank_mask:0xf
	v_add_f64 v[18:19], v[4:5], v[18:19]
	v_cndmask_b32_e64 v4, v18, v4, s[6:7]
	v_cndmask_b32_e64 v5, v19, v5, s[6:7]
	s_nop 0
	v_mov_b32_dpp v18, v4 row_bcast:31 row_mask:0xf bank_mask:0xf
	v_mov_b32_dpp v19, v5 row_bcast:31 row_mask:0xf bank_mask:0xf
	v_add_f64 v[18:19], v[4:5], v[18:19]
	v_cndmask_b32_e64 v4, v4, v18, s[14:15]
	v_cndmask_b32_e64 v5, v5, v19, s[14:15]
	;; [unrolled: 1-line block ×4, first 2 shown]
	s_and_saveexec_b64 s[16:17], s[10:11]
	s_cbranch_execz .LBB123_3
; %bb.2:                                ;   in Loop: Header=BB123_1 Depth=1
	ds_write_b64 v23, v[0:1]
.LBB123_3:                              ;   in Loop: Header=BB123_1 Depth=1
	s_or_b64 exec, exec, s[16:17]
	v_add_f64 v[0:1], v[0:1], s[20:21]
	ds_bpermute_b32 v1, v24, v1
	ds_bpermute_b32 v0, v24, v0
	v_mov_b32_e32 v4, s21
	s_add_i32 s22, s22, -1
	s_cmp_lg_u32 s22, 0
	s_waitcnt lgkmcnt(1)
	v_cndmask_b32_e64 v19, v1, v4, s[12:13]
	v_mov_b32_e32 v1, s20
	s_waitcnt lgkmcnt(0)
	v_cndmask_b32_e64 v18, v0, v1, s[12:13]
	v_add_f64 v[20:21], v[14:15], v[18:19]
	v_add_f64 v[14:15], v[16:17], v[20:21]
	v_add_f64 v[16:17], v[10:11], v[14:15]
	v_add_f64 v[10:11], v[12:13], v[16:17]
	v_add_f64 v[12:13], v[6:7], v[10:11]
	v_add_f64 v[0:1], v[8:9], v[12:13]
	v_add_f64 v[4:5], v[2:3], v[0:1]
	s_waitcnt lgkmcnt(0)
	; wave barrier
	s_cbranch_scc0 .LBB123_5
; %bb.4:                                ;   in Loop: Header=BB123_1 Depth=1
	v_mov_b64_e32 v[2:3], v[0:1]
	v_mov_b64_e32 v[8:9], v[12:13]
	;; [unrolled: 1-line block ×7, first 2 shown]
	s_branch .LBB123_1
.LBB123_5:
	v_mov_b32_e32 v2, s18
	v_mov_b32_e32 v3, s19
	v_lshl_add_u64 v[6:7], v[22:23], 3, v[2:3]
	v_mov_b32_e32 v2, v4
	v_mov_b32_e32 v3, v5
	global_store_dwordx4 v[6:7], v[18:21], off
	global_store_dwordx4 v[6:7], v[14:17], off offset:16
	global_store_dwordx4 v[6:7], v[10:13], off offset:32
	;; [unrolled: 1-line block ×3, first 2 shown]
	s_endpgm
	.section	.rodata,"a",@progbits
	.p2align	6, 0x0
	.amdhsa_kernel _Z6kernelI14exclusive_scanILN6hipcub18BlockScanAlgorithmE1EEdLj64ELj8ELj100EEvPKT0_PS4_S4_
		.amdhsa_group_segment_fixed_size 8
		.amdhsa_private_segment_fixed_size 0
		.amdhsa_kernarg_size 280
		.amdhsa_user_sgpr_count 2
		.amdhsa_user_sgpr_dispatch_ptr 0
		.amdhsa_user_sgpr_queue_ptr 0
		.amdhsa_user_sgpr_kernarg_segment_ptr 1
		.amdhsa_user_sgpr_dispatch_id 0
		.amdhsa_user_sgpr_kernarg_preload_length 0
		.amdhsa_user_sgpr_kernarg_preload_offset 0
		.amdhsa_user_sgpr_private_segment_size 0
		.amdhsa_uses_dynamic_stack 0
		.amdhsa_enable_private_segment 0
		.amdhsa_system_sgpr_workgroup_id_x 1
		.amdhsa_system_sgpr_workgroup_id_y 0
		.amdhsa_system_sgpr_workgroup_id_z 0
		.amdhsa_system_sgpr_workgroup_info 0
		.amdhsa_system_vgpr_workitem_id 0
		.amdhsa_next_free_vgpr 25
		.amdhsa_next_free_sgpr 23
		.amdhsa_accum_offset 28
		.amdhsa_reserve_vcc 1
		.amdhsa_float_round_mode_32 0
		.amdhsa_float_round_mode_16_64 0
		.amdhsa_float_denorm_mode_32 3
		.amdhsa_float_denorm_mode_16_64 3
		.amdhsa_dx10_clamp 1
		.amdhsa_ieee_mode 1
		.amdhsa_fp16_overflow 0
		.amdhsa_tg_split 0
		.amdhsa_exception_fp_ieee_invalid_op 0
		.amdhsa_exception_fp_denorm_src 0
		.amdhsa_exception_fp_ieee_div_zero 0
		.amdhsa_exception_fp_ieee_overflow 0
		.amdhsa_exception_fp_ieee_underflow 0
		.amdhsa_exception_fp_ieee_inexact 0
		.amdhsa_exception_int_div_zero 0
	.end_amdhsa_kernel
	.section	.text._Z6kernelI14exclusive_scanILN6hipcub18BlockScanAlgorithmE1EEdLj64ELj8ELj100EEvPKT0_PS4_S4_,"axG",@progbits,_Z6kernelI14exclusive_scanILN6hipcub18BlockScanAlgorithmE1EEdLj64ELj8ELj100EEvPKT0_PS4_S4_,comdat
.Lfunc_end123:
	.size	_Z6kernelI14exclusive_scanILN6hipcub18BlockScanAlgorithmE1EEdLj64ELj8ELj100EEvPKT0_PS4_S4_, .Lfunc_end123-_Z6kernelI14exclusive_scanILN6hipcub18BlockScanAlgorithmE1EEdLj64ELj8ELj100EEvPKT0_PS4_S4_
                                        ; -- End function
	.section	.AMDGPU.csdata,"",@progbits
; Kernel info:
; codeLenInByte = 800
; NumSgprs: 29
; NumVgprs: 25
; NumAgprs: 0
; TotalNumVgprs: 25
; ScratchSize: 0
; MemoryBound: 0
; FloatMode: 240
; IeeeMode: 1
; LDSByteSize: 8 bytes/workgroup (compile time only)
; SGPRBlocks: 3
; VGPRBlocks: 3
; NumSGPRsForWavesPerEU: 29
; NumVGPRsForWavesPerEU: 25
; AccumOffset: 28
; Occupancy: 8
; WaveLimiterHint : 0
; COMPUTE_PGM_RSRC2:SCRATCH_EN: 0
; COMPUTE_PGM_RSRC2:USER_SGPR: 2
; COMPUTE_PGM_RSRC2:TRAP_HANDLER: 0
; COMPUTE_PGM_RSRC2:TGID_X_EN: 1
; COMPUTE_PGM_RSRC2:TGID_Y_EN: 0
; COMPUTE_PGM_RSRC2:TGID_Z_EN: 0
; COMPUTE_PGM_RSRC2:TIDIG_COMP_CNT: 0
; COMPUTE_PGM_RSRC3_GFX90A:ACCUM_OFFSET: 6
; COMPUTE_PGM_RSRC3_GFX90A:TG_SPLIT: 0
	.section	.text._Z6kernelI14exclusive_scanILN6hipcub18BlockScanAlgorithmE1EEdLj64ELj11ELj100EEvPKT0_PS4_S4_,"axG",@progbits,_Z6kernelI14exclusive_scanILN6hipcub18BlockScanAlgorithmE1EEdLj64ELj11ELj100EEvPKT0_PS4_S4_,comdat
	.protected	_Z6kernelI14exclusive_scanILN6hipcub18BlockScanAlgorithmE1EEdLj64ELj11ELj100EEvPKT0_PS4_S4_ ; -- Begin function _Z6kernelI14exclusive_scanILN6hipcub18BlockScanAlgorithmE1EEdLj64ELj11ELj100EEvPKT0_PS4_S4_
	.globl	_Z6kernelI14exclusive_scanILN6hipcub18BlockScanAlgorithmE1EEdLj64ELj11ELj100EEvPKT0_PS4_S4_
	.p2align	8
	.type	_Z6kernelI14exclusive_scanILN6hipcub18BlockScanAlgorithmE1EEdLj64ELj11ELj100EEvPKT0_PS4_S4_,@function
_Z6kernelI14exclusive_scanILN6hipcub18BlockScanAlgorithmE1EEdLj64ELj11ELj100EEvPKT0_PS4_S4_: ; @_Z6kernelI14exclusive_scanILN6hipcub18BlockScanAlgorithmE1EEdLj64ELj11ELj100EEvPKT0_PS4_S4_
; %bb.0:
	s_load_dword s3, s[0:1], 0x24
	s_load_dwordx4 s[16:19], s[0:1], 0x0
	s_load_dwordx2 s[20:21], s[0:1], 0x10
	v_mov_b32_e32 v3, 0
	v_mov_b32_e32 v5, v3
	s_waitcnt lgkmcnt(0)
	s_and_b32 s0, s3, 0xffff
	s_mul_i32 s2, s2, s0
	v_add_u32_e32 v1, s2, v0
	v_mul_lo_u32 v2, v1, 11
	v_lshl_add_u64 v[10:11], v[2:3], 3, s[16:17]
	v_add_u32_e32 v4, 1, v2
	v_add_u32_e32 v6, 2, v2
	v_mov_b32_e32 v7, v3
	v_add_u32_e32 v8, 3, v2
	v_mov_b32_e32 v9, v3
	v_lshl_add_u64 v[12:13], v[4:5], 3, s[16:17]
	v_lshl_add_u64 v[14:15], v[6:7], 3, s[16:17]
	;; [unrolled: 1-line block ×3, first 2 shown]
	global_load_dwordx2 v[30:31], v[10:11], off
	global_load_dwordx2 v[28:29], v[12:13], off
	;; [unrolled: 1-line block ×4, first 2 shown]
	v_add_u32_e32 v10, 4, v2
	v_mov_b32_e32 v11, v3
	v_lshl_add_u64 v[18:19], v[10:11], 3, s[16:17]
	v_add_u32_e32 v12, 5, v2
	v_mov_b32_e32 v13, v3
	v_add_u32_e32 v14, 6, v2
	v_mov_b32_e32 v15, v3
	;; [unrolled: 2-line block ×3, first 2 shown]
	v_lshl_add_u64 v[20:21], v[12:13], 3, s[16:17]
	v_lshl_add_u64 v[22:23], v[14:15], 3, s[16:17]
	;; [unrolled: 1-line block ×3, first 2 shown]
	global_load_dwordx2 v[38:39], v[18:19], off
	global_load_dwordx2 v[36:37], v[20:21], off
	;; [unrolled: 1-line block ×4, first 2 shown]
	v_add_u32_e32 v18, 8, v2
	v_mov_b32_e32 v19, v3
	v_lshl_add_u64 v[46:47], v[18:19], 3, s[16:17]
	v_add_u32_e32 v20, 9, v2
	v_mov_b32_e32 v21, v3
	v_add_u32_e32 v22, 10, v2
	v_mov_b32_e32 v23, v3
	v_lshl_add_u64 v[48:49], v[20:21], 3, s[16:17]
	v_lshl_add_u64 v[50:51], v[22:23], 3, s[16:17]
	global_load_dwordx2 v[42:43], v[46:47], off
	global_load_dwordx2 v[40:41], v[48:49], off
	;; [unrolled: 1-line block ×3, first 2 shown]
	v_mbcnt_lo_u32_b32 v1, -1, 0
	v_mbcnt_hi_u32_b32 v1, -1, v1
	v_and_b32_e32 v46, 15, v1
	v_cmp_eq_u32_e32 vcc, 0, v46
	v_cmp_lt_u32_e64 s[0:1], 1, v46
	v_cmp_lt_u32_e64 s[2:3], 3, v46
	;; [unrolled: 1-line block ×3, first 2 shown]
	v_and_b32_e32 v46, 16, v1
	v_cmp_eq_u32_e64 s[6:7], 0, v46
	v_add_u32_e32 v46, -1, v1
	v_and_b32_e32 v47, 64, v1
	v_cmp_lt_i32_e64 s[12:13], v46, v47
	v_cmp_eq_u32_e64 s[8:9], 0, v1
	v_cmp_eq_u32_e64 s[10:11], 63, v0
	v_cndmask_b32_e64 v46, v46, v1, s[12:13]
	v_cmp_eq_u32_e64 s[12:13], 0, v0
	v_lshlrev_b32_e32 v46, 2, v46
	s_or_b64 s[12:13], s[12:13], s[8:9]
	v_cmp_lt_u32_e64 s[14:15], 31, v1
	s_movk_i32 s22, 0x64
.LBB124_1:                              ; =>This Inner Loop Header: Depth=1
	s_waitcnt vmcnt(9)
	v_add_f64 v[0:1], v[28:29], v[30:31]
	s_waitcnt vmcnt(8)
	v_add_f64 v[0:1], v[26:27], v[0:1]
	;; [unrolled: 2-line block ×10, first 2 shown]
	s_nop 1
	v_mov_b32_dpp v44, v0 row_shr:1 row_mask:0xf bank_mask:0xf
	v_mov_b32_dpp v45, v1 row_shr:1 row_mask:0xf bank_mask:0xf
	v_add_f64 v[44:45], v[0:1], v[44:45]
	v_cndmask_b32_e32 v44, v44, v0, vcc
	v_cndmask_b32_e32 v45, v45, v1, vcc
	s_nop 0
	v_mov_b32_dpp v48, v44 row_shr:2 row_mask:0xf bank_mask:0xf
	v_mov_b32_dpp v49, v45 row_shr:2 row_mask:0xf bank_mask:0xf
	v_add_f64 v[48:49], v[44:45], v[48:49]
	v_cndmask_b32_e64 v44, v44, v48, s[0:1]
	v_cndmask_b32_e64 v45, v45, v49, s[0:1]
	s_nop 0
	v_mov_b32_dpp v48, v44 row_shr:4 row_mask:0xf bank_mask:0xf
	v_mov_b32_dpp v49, v45 row_shr:4 row_mask:0xf bank_mask:0xf
	v_add_f64 v[48:49], v[44:45], v[48:49]
	v_cndmask_b32_e64 v44, v44, v48, s[2:3]
	v_cndmask_b32_e64 v45, v45, v49, s[2:3]
	;; [unrolled: 6-line block ×3, first 2 shown]
	s_nop 0
	v_mov_b32_dpp v48, v44 row_bcast:15 row_mask:0xf bank_mask:0xf
	v_mov_b32_dpp v49, v45 row_bcast:15 row_mask:0xf bank_mask:0xf
	v_add_f64 v[48:49], v[44:45], v[48:49]
	v_cndmask_b32_e64 v44, v48, v44, s[6:7]
	v_cndmask_b32_e64 v45, v49, v45, s[6:7]
	s_nop 0
	v_mov_b32_dpp v48, v44 row_bcast:31 row_mask:0xf bank_mask:0xf
	v_mov_b32_dpp v49, v45 row_bcast:31 row_mask:0xf bank_mask:0xf
	v_add_f64 v[48:49], v[44:45], v[48:49]
	v_cndmask_b32_e64 v44, v44, v48, s[14:15]
	v_cndmask_b32_e64 v45, v45, v49, s[14:15]
	;; [unrolled: 1-line block ×4, first 2 shown]
	s_and_saveexec_b64 s[16:17], s[10:11]
	s_cbranch_execz .LBB124_3
; %bb.2:                                ;   in Loop: Header=BB124_1 Depth=1
	ds_write_b64 v3, v[0:1]
.LBB124_3:                              ;   in Loop: Header=BB124_1 Depth=1
	s_or_b64 exec, exec, s[16:17]
	v_add_f64 v[0:1], v[0:1], s[20:21]
	ds_bpermute_b32 v1, v46, v1
	ds_bpermute_b32 v0, v46, v0
	v_mov_b32_e32 v44, s21
	s_add_i32 s22, s22, -1
	s_cmp_lg_u32 s22, 0
	s_waitcnt lgkmcnt(1)
	v_cndmask_b32_e64 v1, v1, v44, s[12:13]
	v_mov_b32_e32 v44, s20
	s_waitcnt lgkmcnt(0)
	v_cndmask_b32_e64 v0, v0, v44, s[12:13]
	v_add_f64 v[30:31], v[30:31], v[0:1]
	v_add_f64 v[28:29], v[28:29], v[30:31]
	;; [unrolled: 1-line block ×10, first 2 shown]
	s_waitcnt lgkmcnt(0)
	; wave barrier
	s_cbranch_scc0 .LBB124_5
; %bb.4:                                ;   in Loop: Header=BB124_1 Depth=1
	v_mov_b64_e32 v[40:41], v[42:43]
	v_mov_b64_e32 v[42:43], v[32:33]
	;; [unrolled: 1-line block ×10, first 2 shown]
	s_branch .LBB124_1
.LBB124_5:
	v_lshl_add_u64 v[2:3], v[2:3], 3, s[18:19]
	global_store_dwordx2 v[2:3], v[0:1], off
	v_lshl_add_u64 v[0:1], v[4:5], 3, s[18:19]
	global_store_dwordx2 v[0:1], v[30:31], off
	;; [unrolled: 2-line block ×11, first 2 shown]
	s_endpgm
	.section	.rodata,"a",@progbits
	.p2align	6, 0x0
	.amdhsa_kernel _Z6kernelI14exclusive_scanILN6hipcub18BlockScanAlgorithmE1EEdLj64ELj11ELj100EEvPKT0_PS4_S4_
		.amdhsa_group_segment_fixed_size 8
		.amdhsa_private_segment_fixed_size 0
		.amdhsa_kernarg_size 280
		.amdhsa_user_sgpr_count 2
		.amdhsa_user_sgpr_dispatch_ptr 0
		.amdhsa_user_sgpr_queue_ptr 0
		.amdhsa_user_sgpr_kernarg_segment_ptr 1
		.amdhsa_user_sgpr_dispatch_id 0
		.amdhsa_user_sgpr_kernarg_preload_length 0
		.amdhsa_user_sgpr_kernarg_preload_offset 0
		.amdhsa_user_sgpr_private_segment_size 0
		.amdhsa_uses_dynamic_stack 0
		.amdhsa_enable_private_segment 0
		.amdhsa_system_sgpr_workgroup_id_x 1
		.amdhsa_system_sgpr_workgroup_id_y 0
		.amdhsa_system_sgpr_workgroup_id_z 0
		.amdhsa_system_sgpr_workgroup_info 0
		.amdhsa_system_vgpr_workitem_id 0
		.amdhsa_next_free_vgpr 52
		.amdhsa_next_free_sgpr 23
		.amdhsa_accum_offset 52
		.amdhsa_reserve_vcc 1
		.amdhsa_float_round_mode_32 0
		.amdhsa_float_round_mode_16_64 0
		.amdhsa_float_denorm_mode_32 3
		.amdhsa_float_denorm_mode_16_64 3
		.amdhsa_dx10_clamp 1
		.amdhsa_ieee_mode 1
		.amdhsa_fp16_overflow 0
		.amdhsa_tg_split 0
		.amdhsa_exception_fp_ieee_invalid_op 0
		.amdhsa_exception_fp_denorm_src 0
		.amdhsa_exception_fp_ieee_div_zero 0
		.amdhsa_exception_fp_ieee_overflow 0
		.amdhsa_exception_fp_ieee_underflow 0
		.amdhsa_exception_fp_ieee_inexact 0
		.amdhsa_exception_int_div_zero 0
	.end_amdhsa_kernel
	.section	.text._Z6kernelI14exclusive_scanILN6hipcub18BlockScanAlgorithmE1EEdLj64ELj11ELj100EEvPKT0_PS4_S4_,"axG",@progbits,_Z6kernelI14exclusive_scanILN6hipcub18BlockScanAlgorithmE1EEdLj64ELj11ELj100EEvPKT0_PS4_S4_,comdat
.Lfunc_end124:
	.size	_Z6kernelI14exclusive_scanILN6hipcub18BlockScanAlgorithmE1EEdLj64ELj11ELj100EEvPKT0_PS4_S4_, .Lfunc_end124-_Z6kernelI14exclusive_scanILN6hipcub18BlockScanAlgorithmE1EEdLj64ELj11ELj100EEvPKT0_PS4_S4_
                                        ; -- End function
	.section	.AMDGPU.csdata,"",@progbits
; Kernel info:
; codeLenInByte = 1228
; NumSgprs: 29
; NumVgprs: 52
; NumAgprs: 0
; TotalNumVgprs: 52
; ScratchSize: 0
; MemoryBound: 0
; FloatMode: 240
; IeeeMode: 1
; LDSByteSize: 8 bytes/workgroup (compile time only)
; SGPRBlocks: 3
; VGPRBlocks: 6
; NumSGPRsForWavesPerEU: 29
; NumVGPRsForWavesPerEU: 52
; AccumOffset: 52
; Occupancy: 8
; WaveLimiterHint : 0
; COMPUTE_PGM_RSRC2:SCRATCH_EN: 0
; COMPUTE_PGM_RSRC2:USER_SGPR: 2
; COMPUTE_PGM_RSRC2:TRAP_HANDLER: 0
; COMPUTE_PGM_RSRC2:TGID_X_EN: 1
; COMPUTE_PGM_RSRC2:TGID_Y_EN: 0
; COMPUTE_PGM_RSRC2:TGID_Z_EN: 0
; COMPUTE_PGM_RSRC2:TIDIG_COMP_CNT: 0
; COMPUTE_PGM_RSRC3_GFX90A:ACCUM_OFFSET: 12
; COMPUTE_PGM_RSRC3_GFX90A:TG_SPLIT: 0
	.section	.text._Z6kernelI14exclusive_scanILN6hipcub18BlockScanAlgorithmE1EEdLj64ELj16ELj100EEvPKT0_PS4_S4_,"axG",@progbits,_Z6kernelI14exclusive_scanILN6hipcub18BlockScanAlgorithmE1EEdLj64ELj16ELj100EEvPKT0_PS4_S4_,comdat
	.protected	_Z6kernelI14exclusive_scanILN6hipcub18BlockScanAlgorithmE1EEdLj64ELj16ELj100EEvPKT0_PS4_S4_ ; -- Begin function _Z6kernelI14exclusive_scanILN6hipcub18BlockScanAlgorithmE1EEdLj64ELj16ELj100EEvPKT0_PS4_S4_
	.globl	_Z6kernelI14exclusive_scanILN6hipcub18BlockScanAlgorithmE1EEdLj64ELj16ELj100EEvPKT0_PS4_S4_
	.p2align	8
	.type	_Z6kernelI14exclusive_scanILN6hipcub18BlockScanAlgorithmE1EEdLj64ELj16ELj100EEvPKT0_PS4_S4_,@function
_Z6kernelI14exclusive_scanILN6hipcub18BlockScanAlgorithmE1EEdLj64ELj16ELj100EEvPKT0_PS4_S4_: ; @_Z6kernelI14exclusive_scanILN6hipcub18BlockScanAlgorithmE1EEdLj64ELj16ELj100EEvPKT0_PS4_S4_
; %bb.0:
	s_load_dwordx4 s[16:19], s[0:1], 0x0
	s_load_dword s3, s[0:1], 0x24
	s_load_dwordx2 s[20:21], s[0:1], 0x10
	v_mov_b32_e32 v47, 0
	v_mbcnt_lo_u32_b32 v1, -1, 0
	s_waitcnt lgkmcnt(0)
	v_mov_b32_e32 v2, s16
	s_and_b32 s0, s3, 0xffff
	s_mul_i32 s2, s2, s0
	v_mov_b32_e32 v3, s17
	v_add_lshl_u32 v46, s2, v0, 4
	v_lshl_add_u64 v[34:35], v[46:47], 3, v[2:3]
	global_load_dwordx4 v[6:9], v[34:35], off offset:48
	global_load_dwordx4 v[10:13], v[34:35], off offset:32
	global_load_dwordx4 v[14:17], v[34:35], off offset:16
	global_load_dwordx4 v[18:21], v[34:35], off
	global_load_dwordx4 v[2:5], v[34:35], off offset:112
	global_load_dwordx4 v[22:25], v[34:35], off offset:96
	;; [unrolled: 1-line block ×4, first 2 shown]
	v_mbcnt_hi_u32_b32 v1, -1, v1
	v_and_b32_e32 v34, 15, v1
	v_cmp_eq_u32_e32 vcc, 0, v34
	v_cmp_lt_u32_e64 s[0:1], 1, v34
	v_cmp_lt_u32_e64 s[2:3], 3, v34
	;; [unrolled: 1-line block ×3, first 2 shown]
	v_and_b32_e32 v34, 16, v1
	v_cmp_eq_u32_e64 s[6:7], 0, v34
	v_add_u32_e32 v34, -1, v1
	v_and_b32_e32 v35, 64, v1
	v_cmp_lt_i32_e64 s[12:13], v34, v35
	v_cmp_eq_u32_e64 s[8:9], 0, v1
	v_cmp_eq_u32_e64 s[10:11], 63, v0
	v_cndmask_b32_e64 v34, v34, v1, s[12:13]
	v_cmp_eq_u32_e64 s[12:13], 0, v0
	v_lshlrev_b32_e32 v48, 2, v34
	s_or_b64 s[12:13], s[12:13], s[8:9]
	v_cmp_lt_u32_e64 s[14:15], 31, v1
	s_movk_i32 s22, 0x64
.LBB125_1:                              ; =>This Inner Loop Header: Depth=1
	s_waitcnt vmcnt(4)
	v_add_f64 v[0:1], v[20:21], v[18:19]
	v_add_f64 v[0:1], v[14:15], v[0:1]
	;; [unrolled: 1-line block ×7, first 2 shown]
	s_waitcnt vmcnt(0)
	v_add_f64 v[0:1], v[30:31], v[0:1]
	v_add_f64 v[0:1], v[32:33], v[0:1]
	;; [unrolled: 1-line block ×8, first 2 shown]
	s_nop 1
	v_mov_b32_dpp v4, v0 row_shr:1 row_mask:0xf bank_mask:0xf
	v_mov_b32_dpp v5, v1 row_shr:1 row_mask:0xf bank_mask:0xf
	v_add_f64 v[4:5], v[0:1], v[4:5]
	v_cndmask_b32_e32 v4, v4, v0, vcc
	v_cndmask_b32_e32 v5, v5, v1, vcc
	s_nop 0
	v_mov_b32_dpp v34, v4 row_shr:2 row_mask:0xf bank_mask:0xf
	v_mov_b32_dpp v35, v5 row_shr:2 row_mask:0xf bank_mask:0xf
	v_add_f64 v[34:35], v[4:5], v[34:35]
	v_cndmask_b32_e64 v4, v4, v34, s[0:1]
	v_cndmask_b32_e64 v5, v5, v35, s[0:1]
	s_nop 0
	v_mov_b32_dpp v34, v4 row_shr:4 row_mask:0xf bank_mask:0xf
	v_mov_b32_dpp v35, v5 row_shr:4 row_mask:0xf bank_mask:0xf
	v_add_f64 v[34:35], v[4:5], v[34:35]
	v_cndmask_b32_e64 v4, v4, v34, s[2:3]
	v_cndmask_b32_e64 v5, v5, v35, s[2:3]
	;; [unrolled: 6-line block ×3, first 2 shown]
	s_nop 0
	v_mov_b32_dpp v34, v4 row_bcast:15 row_mask:0xf bank_mask:0xf
	v_mov_b32_dpp v35, v5 row_bcast:15 row_mask:0xf bank_mask:0xf
	v_add_f64 v[34:35], v[4:5], v[34:35]
	v_cndmask_b32_e64 v4, v34, v4, s[6:7]
	v_cndmask_b32_e64 v5, v35, v5, s[6:7]
	s_nop 0
	v_mov_b32_dpp v34, v4 row_bcast:31 row_mask:0xf bank_mask:0xf
	v_mov_b32_dpp v35, v5 row_bcast:31 row_mask:0xf bank_mask:0xf
	v_add_f64 v[34:35], v[4:5], v[34:35]
	v_cndmask_b32_e64 v4, v4, v34, s[14:15]
	v_cndmask_b32_e64 v5, v5, v35, s[14:15]
	;; [unrolled: 1-line block ×4, first 2 shown]
	s_and_saveexec_b64 s[16:17], s[10:11]
	s_cbranch_execz .LBB125_3
; %bb.2:                                ;   in Loop: Header=BB125_1 Depth=1
	ds_write_b64 v47, v[0:1]
.LBB125_3:                              ;   in Loop: Header=BB125_1 Depth=1
	s_or_b64 exec, exec, s[16:17]
	v_add_f64 v[0:1], v[0:1], s[20:21]
	ds_bpermute_b32 v1, v48, v1
	ds_bpermute_b32 v0, v48, v0
	v_mov_b32_e32 v4, s21
	s_add_i32 s22, s22, -1
	s_cmp_lg_u32 s22, 0
	s_waitcnt lgkmcnt(1)
	v_cndmask_b32_e64 v43, v1, v4, s[12:13]
	v_mov_b32_e32 v1, s20
	s_waitcnt lgkmcnt(0)
	v_cndmask_b32_e64 v42, v0, v1, s[12:13]
	v_add_f64 v[44:45], v[18:19], v[42:43]
	v_add_f64 v[38:39], v[20:21], v[44:45]
	;; [unrolled: 1-line block ×15, first 2 shown]
	s_waitcnt lgkmcnt(0)
	; wave barrier
	s_cbranch_scc0 .LBB125_5
; %bb.4:                                ;   in Loop: Header=BB125_1 Depth=1
	v_mov_b64_e32 v[2:3], v[0:1]
	v_mov_b64_e32 v[24:25], v[8:9]
	;; [unrolled: 1-line block ×15, first 2 shown]
	s_branch .LBB125_1
.LBB125_5:
	v_mov_b32_e32 v2, s18
	v_mov_b32_e32 v3, s19
	v_lshl_add_u64 v[22:23], v[46:47], 3, v[2:3]
	v_mov_b32_e32 v2, v4
	v_mov_b32_e32 v3, v5
	global_store_dwordx4 v[22:23], v[42:45], off
	global_store_dwordx4 v[22:23], v[38:41], off offset:16
	global_store_dwordx4 v[22:23], v[34:37], off offset:32
	;; [unrolled: 1-line block ×7, first 2 shown]
	s_endpgm
	.section	.rodata,"a",@progbits
	.p2align	6, 0x0
	.amdhsa_kernel _Z6kernelI14exclusive_scanILN6hipcub18BlockScanAlgorithmE1EEdLj64ELj16ELj100EEvPKT0_PS4_S4_
		.amdhsa_group_segment_fixed_size 8
		.amdhsa_private_segment_fixed_size 0
		.amdhsa_kernarg_size 280
		.amdhsa_user_sgpr_count 2
		.amdhsa_user_sgpr_dispatch_ptr 0
		.amdhsa_user_sgpr_queue_ptr 0
		.amdhsa_user_sgpr_kernarg_segment_ptr 1
		.amdhsa_user_sgpr_dispatch_id 0
		.amdhsa_user_sgpr_kernarg_preload_length 0
		.amdhsa_user_sgpr_kernarg_preload_offset 0
		.amdhsa_user_sgpr_private_segment_size 0
		.amdhsa_uses_dynamic_stack 0
		.amdhsa_enable_private_segment 0
		.amdhsa_system_sgpr_workgroup_id_x 1
		.amdhsa_system_sgpr_workgroup_id_y 0
		.amdhsa_system_sgpr_workgroup_id_z 0
		.amdhsa_system_sgpr_workgroup_info 0
		.amdhsa_system_vgpr_workitem_id 0
		.amdhsa_next_free_vgpr 49
		.amdhsa_next_free_sgpr 23
		.amdhsa_accum_offset 52
		.amdhsa_reserve_vcc 1
		.amdhsa_float_round_mode_32 0
		.amdhsa_float_round_mode_16_64 0
		.amdhsa_float_denorm_mode_32 3
		.amdhsa_float_denorm_mode_16_64 3
		.amdhsa_dx10_clamp 1
		.amdhsa_ieee_mode 1
		.amdhsa_fp16_overflow 0
		.amdhsa_tg_split 0
		.amdhsa_exception_fp_ieee_invalid_op 0
		.amdhsa_exception_fp_denorm_src 0
		.amdhsa_exception_fp_ieee_div_zero 0
		.amdhsa_exception_fp_ieee_overflow 0
		.amdhsa_exception_fp_ieee_underflow 0
		.amdhsa_exception_fp_ieee_inexact 0
		.amdhsa_exception_int_div_zero 0
	.end_amdhsa_kernel
	.section	.text._Z6kernelI14exclusive_scanILN6hipcub18BlockScanAlgorithmE1EEdLj64ELj16ELj100EEvPKT0_PS4_S4_,"axG",@progbits,_Z6kernelI14exclusive_scanILN6hipcub18BlockScanAlgorithmE1EEdLj64ELj16ELj100EEvPKT0_PS4_S4_,comdat
.Lfunc_end125:
	.size	_Z6kernelI14exclusive_scanILN6hipcub18BlockScanAlgorithmE1EEdLj64ELj16ELj100EEvPKT0_PS4_S4_, .Lfunc_end125-_Z6kernelI14exclusive_scanILN6hipcub18BlockScanAlgorithmE1EEdLj64ELj16ELj100EEvPKT0_PS4_S4_
                                        ; -- End function
	.section	.AMDGPU.csdata,"",@progbits
; Kernel info:
; codeLenInByte = 1028
; NumSgprs: 29
; NumVgprs: 49
; NumAgprs: 0
; TotalNumVgprs: 49
; ScratchSize: 0
; MemoryBound: 1
; FloatMode: 240
; IeeeMode: 1
; LDSByteSize: 8 bytes/workgroup (compile time only)
; SGPRBlocks: 3
; VGPRBlocks: 6
; NumSGPRsForWavesPerEU: 29
; NumVGPRsForWavesPerEU: 49
; AccumOffset: 52
; Occupancy: 8
; WaveLimiterHint : 0
; COMPUTE_PGM_RSRC2:SCRATCH_EN: 0
; COMPUTE_PGM_RSRC2:USER_SGPR: 2
; COMPUTE_PGM_RSRC2:TRAP_HANDLER: 0
; COMPUTE_PGM_RSRC2:TGID_X_EN: 1
; COMPUTE_PGM_RSRC2:TGID_Y_EN: 0
; COMPUTE_PGM_RSRC2:TGID_Z_EN: 0
; COMPUTE_PGM_RSRC2:TIDIG_COMP_CNT: 0
; COMPUTE_PGM_RSRC3_GFX90A:ACCUM_OFFSET: 12
; COMPUTE_PGM_RSRC3_GFX90A:TG_SPLIT: 0
	.section	.text._Z6kernelI14exclusive_scanILN6hipcub18BlockScanAlgorithmE1EEhLj64ELj1ELj100EEvPKT0_PS4_S4_,"axG",@progbits,_Z6kernelI14exclusive_scanILN6hipcub18BlockScanAlgorithmE1EEhLj64ELj1ELj100EEvPKT0_PS4_S4_,comdat
	.protected	_Z6kernelI14exclusive_scanILN6hipcub18BlockScanAlgorithmE1EEhLj64ELj1ELj100EEvPKT0_PS4_S4_ ; -- Begin function _Z6kernelI14exclusive_scanILN6hipcub18BlockScanAlgorithmE1EEhLj64ELj1ELj100EEvPKT0_PS4_S4_
	.globl	_Z6kernelI14exclusive_scanILN6hipcub18BlockScanAlgorithmE1EEhLj64ELj1ELj100EEvPKT0_PS4_S4_
	.p2align	8
	.type	_Z6kernelI14exclusive_scanILN6hipcub18BlockScanAlgorithmE1EEhLj64ELj1ELj100EEvPKT0_PS4_S4_,@function
_Z6kernelI14exclusive_scanILN6hipcub18BlockScanAlgorithmE1EEhLj64ELj1ELj100EEvPKT0_PS4_S4_: ; @_Z6kernelI14exclusive_scanILN6hipcub18BlockScanAlgorithmE1EEhLj64ELj1ELj100EEvPKT0_PS4_S4_
; %bb.0:
	s_load_dword s3, s[0:1], 0x24
	s_load_dwordx4 s[12:15], s[0:1], 0x0
	s_load_dword s18, s[0:1], 0x10
	v_mbcnt_lo_u32_b32 v1, -1, 0
	v_mbcnt_hi_u32_b32 v1, -1, v1
	s_waitcnt lgkmcnt(0)
	s_and_b32 s0, s3, 0xffff
	s_mul_i32 s2, s2, s0
	v_add_u32_e32 v2, s2, v0
	global_load_ubyte v4, v2, s[12:13]
	v_and_b32_e32 v5, 15, v1
	v_cmp_eq_u32_e32 vcc, 0, v5
	v_cmp_lt_u32_e64 s[0:1], 1, v5
	v_cmp_lt_u32_e64 s[2:3], 3, v5
	;; [unrolled: 1-line block ×3, first 2 shown]
	v_and_b32_e32 v5, 16, v1
	v_cmp_eq_u32_e64 s[6:7], 0, v5
	v_cmp_eq_u32_e64 s[10:11], 63, v0
	v_add_u32_e32 v0, -1, v1
	v_and_b32_e32 v5, 64, v1
	v_cmp_lt_i32_e64 s[12:13], v0, v5
	v_mov_b32_e32 v3, 0
	v_cmp_lt_u32_e64 s[8:9], 31, v1
	v_cndmask_b32_e64 v0, v0, v1, s[12:13]
	v_lshlrev_b32_e32 v0, 2, v0
	v_cmp_eq_u32_e64 s[12:13], 0, v1
	s_movk_i32 s19, 0x64
	v_mov_b32_e32 v1, s18
	s_branch .LBB126_2
.LBB126_1:                              ;   in Loop: Header=BB126_2 Depth=1
	s_or_b64 exec, exec, s[16:17]
	v_add_u16_e32 v4, s18, v4
	v_and_b32_e32 v4, 0xff, v4
	ds_bpermute_b32 v4, v0, v4
	s_add_i32 s19, s19, -1
	s_cmp_lg_u32 s19, 0
	s_waitcnt lgkmcnt(0)
	; wave barrier
	s_waitcnt lgkmcnt(0)
	v_cndmask_b32_e64 v4, v4, v1, s[12:13]
	s_cbranch_scc0 .LBB126_4
.LBB126_2:                              ; =>This Inner Loop Header: Depth=1
	s_waitcnt vmcnt(0)
	v_and_b32_e32 v5, 0xff, v4
	s_nop 1
	v_mov_b32_dpp v5, v5 row_shr:1 row_mask:0xf bank_mask:0xf
	v_cndmask_b32_e64 v5, v5, 0, vcc
	v_add_u16_e32 v4, v5, v4
	v_and_b32_e32 v5, 0xff, v4
	s_nop 1
	v_mov_b32_dpp v5, v5 row_shr:2 row_mask:0xf bank_mask:0xf
	v_cndmask_b32_e64 v5, 0, v5, s[0:1]
	v_add_u16_e32 v4, v4, v5
	v_and_b32_e32 v5, 0xff, v4
	s_nop 1
	v_mov_b32_dpp v5, v5 row_shr:4 row_mask:0xf bank_mask:0xf
	v_cndmask_b32_e64 v5, 0, v5, s[2:3]
	;; [unrolled: 5-line block ×3, first 2 shown]
	v_add_u16_e32 v4, v4, v5
	v_and_b32_e32 v5, 0xff, v4
	s_nop 1
	v_mov_b32_dpp v5, v5 row_bcast:15 row_mask:0xf bank_mask:0xf
	v_cndmask_b32_e64 v5, v5, 0, s[6:7]
	v_add_u16_e32 v4, v4, v5
	v_and_b32_e32 v5, 0xff, v4
	s_nop 1
	v_mov_b32_dpp v5, v5 row_bcast:31 row_mask:0xf bank_mask:0xf
	v_cndmask_b32_e64 v5, 0, v5, s[8:9]
	v_add_u16_e32 v4, v4, v5
	s_and_saveexec_b64 s[16:17], s[10:11]
	s_cbranch_execz .LBB126_1
; %bb.3:                                ;   in Loop: Header=BB126_2 Depth=1
	ds_write_b8 v3, v4
	s_branch .LBB126_1
.LBB126_4:
	v_lshl_add_u64 v[0:1], s[14:15], 0, v[2:3]
	global_store_byte v[0:1], v4, off
	s_endpgm
	.section	.rodata,"a",@progbits
	.p2align	6, 0x0
	.amdhsa_kernel _Z6kernelI14exclusive_scanILN6hipcub18BlockScanAlgorithmE1EEhLj64ELj1ELj100EEvPKT0_PS4_S4_
		.amdhsa_group_segment_fixed_size 1
		.amdhsa_private_segment_fixed_size 0
		.amdhsa_kernarg_size 280
		.amdhsa_user_sgpr_count 2
		.amdhsa_user_sgpr_dispatch_ptr 0
		.amdhsa_user_sgpr_queue_ptr 0
		.amdhsa_user_sgpr_kernarg_segment_ptr 1
		.amdhsa_user_sgpr_dispatch_id 0
		.amdhsa_user_sgpr_kernarg_preload_length 0
		.amdhsa_user_sgpr_kernarg_preload_offset 0
		.amdhsa_user_sgpr_private_segment_size 0
		.amdhsa_uses_dynamic_stack 0
		.amdhsa_enable_private_segment 0
		.amdhsa_system_sgpr_workgroup_id_x 1
		.amdhsa_system_sgpr_workgroup_id_y 0
		.amdhsa_system_sgpr_workgroup_id_z 0
		.amdhsa_system_sgpr_workgroup_info 0
		.amdhsa_system_vgpr_workitem_id 0
		.amdhsa_next_free_vgpr 6
		.amdhsa_next_free_sgpr 20
		.amdhsa_accum_offset 8
		.amdhsa_reserve_vcc 1
		.amdhsa_float_round_mode_32 0
		.amdhsa_float_round_mode_16_64 0
		.amdhsa_float_denorm_mode_32 3
		.amdhsa_float_denorm_mode_16_64 3
		.amdhsa_dx10_clamp 1
		.amdhsa_ieee_mode 1
		.amdhsa_fp16_overflow 0
		.amdhsa_tg_split 0
		.amdhsa_exception_fp_ieee_invalid_op 0
		.amdhsa_exception_fp_denorm_src 0
		.amdhsa_exception_fp_ieee_div_zero 0
		.amdhsa_exception_fp_ieee_overflow 0
		.amdhsa_exception_fp_ieee_underflow 0
		.amdhsa_exception_fp_ieee_inexact 0
		.amdhsa_exception_int_div_zero 0
	.end_amdhsa_kernel
	.section	.text._Z6kernelI14exclusive_scanILN6hipcub18BlockScanAlgorithmE1EEhLj64ELj1ELj100EEvPKT0_PS4_S4_,"axG",@progbits,_Z6kernelI14exclusive_scanILN6hipcub18BlockScanAlgorithmE1EEhLj64ELj1ELj100EEvPKT0_PS4_S4_,comdat
.Lfunc_end126:
	.size	_Z6kernelI14exclusive_scanILN6hipcub18BlockScanAlgorithmE1EEhLj64ELj1ELj100EEvPKT0_PS4_S4_, .Lfunc_end126-_Z6kernelI14exclusive_scanILN6hipcub18BlockScanAlgorithmE1EEhLj64ELj1ELj100EEvPKT0_PS4_S4_
                                        ; -- End function
	.section	.AMDGPU.csdata,"",@progbits
; Kernel info:
; codeLenInByte = 468
; NumSgprs: 26
; NumVgprs: 6
; NumAgprs: 0
; TotalNumVgprs: 6
; ScratchSize: 0
; MemoryBound: 0
; FloatMode: 240
; IeeeMode: 1
; LDSByteSize: 1 bytes/workgroup (compile time only)
; SGPRBlocks: 3
; VGPRBlocks: 0
; NumSGPRsForWavesPerEU: 26
; NumVGPRsForWavesPerEU: 6
; AccumOffset: 8
; Occupancy: 8
; WaveLimiterHint : 0
; COMPUTE_PGM_RSRC2:SCRATCH_EN: 0
; COMPUTE_PGM_RSRC2:USER_SGPR: 2
; COMPUTE_PGM_RSRC2:TRAP_HANDLER: 0
; COMPUTE_PGM_RSRC2:TGID_X_EN: 1
; COMPUTE_PGM_RSRC2:TGID_Y_EN: 0
; COMPUTE_PGM_RSRC2:TGID_Z_EN: 0
; COMPUTE_PGM_RSRC2:TIDIG_COMP_CNT: 0
; COMPUTE_PGM_RSRC3_GFX90A:ACCUM_OFFSET: 1
; COMPUTE_PGM_RSRC3_GFX90A:TG_SPLIT: 0
	.section	.text._Z6kernelI14exclusive_scanILN6hipcub18BlockScanAlgorithmE1EEhLj64ELj3ELj100EEvPKT0_PS4_S4_,"axG",@progbits,_Z6kernelI14exclusive_scanILN6hipcub18BlockScanAlgorithmE1EEhLj64ELj3ELj100EEvPKT0_PS4_S4_,comdat
	.protected	_Z6kernelI14exclusive_scanILN6hipcub18BlockScanAlgorithmE1EEhLj64ELj3ELj100EEvPKT0_PS4_S4_ ; -- Begin function _Z6kernelI14exclusive_scanILN6hipcub18BlockScanAlgorithmE1EEhLj64ELj3ELj100EEvPKT0_PS4_S4_
	.globl	_Z6kernelI14exclusive_scanILN6hipcub18BlockScanAlgorithmE1EEhLj64ELj3ELj100EEvPKT0_PS4_S4_
	.p2align	8
	.type	_Z6kernelI14exclusive_scanILN6hipcub18BlockScanAlgorithmE1EEhLj64ELj3ELj100EEvPKT0_PS4_S4_,@function
_Z6kernelI14exclusive_scanILN6hipcub18BlockScanAlgorithmE1EEhLj64ELj3ELj100EEvPKT0_PS4_S4_: ; @_Z6kernelI14exclusive_scanILN6hipcub18BlockScanAlgorithmE1EEhLj64ELj3ELj100EEvPKT0_PS4_S4_
; %bb.0:
	s_load_dword s3, s[0:1], 0x24
	s_load_dwordx4 s[16:19], s[0:1], 0x0
	s_load_dword s20, s[0:1], 0x10
	v_mbcnt_lo_u32_b32 v10, -1, 0
	v_mbcnt_hi_u32_b32 v10, -1, v10
	s_waitcnt lgkmcnt(0)
	s_and_b32 s0, s3, 0xffff
	s_mul_i32 s2, s2, s0
	v_add_u32_e32 v1, s2, v0
	v_lshl_add_u32 v2, v1, 1, v1
	v_add_u32_e32 v4, 1, v2
	global_load_ubyte v1, v4, s[16:17]
	global_load_ubyte v8, v2, s[16:17]
	v_add_u32_e32 v6, 2, v2
	global_load_ubyte v9, v6, s[16:17]
	v_add_u32_e32 v12, -1, v10
	v_and_b32_e32 v13, 64, v10
	v_cmp_eq_u32_e32 vcc, 63, v0
	v_cmp_eq_u32_e64 s[12:13], 0, v0
	v_and_b32_e32 v0, 15, v10
	v_cmp_lt_i32_e64 s[16:17], v12, v13
	v_mov_b32_e32 v3, 0
	v_and_b32_e32 v11, 16, v10
	v_cmp_eq_u32_e64 s[14:15], 0, v10
	v_cmp_eq_u32_e64 s[2:3], 0, v0
	v_cmp_lt_u32_e64 s[4:5], 1, v0
	v_cmp_lt_u32_e64 s[6:7], 3, v0
	;; [unrolled: 1-line block ×3, first 2 shown]
	v_cndmask_b32_e64 v0, v12, v10, s[16:17]
	s_movk_i32 s21, 0x64
	v_mov_b32_e32 v5, v3
	v_mov_b32_e32 v7, v3
	v_cmp_lt_u32_e64 s[0:1], 31, v10
	v_cmp_eq_u32_e64 s[10:11], 0, v11
	s_or_b64 s[12:13], s[12:13], s[14:15]
	v_lshlrev_b32_e32 v0, 2, v0
	s_waitcnt vmcnt(2)
	v_lshlrev_b16_e32 v1, 8, v1
	s_waitcnt vmcnt(1)
	v_or_b32_e32 v1, v8, v1
	v_and_b32_e32 v1, 0xffff, v1
	s_waitcnt vmcnt(0)
	v_lshl_or_b32 v8, v9, 16, v1
	v_mov_b32_e32 v1, s20
	s_branch .LBB127_2
.LBB127_1:                              ;   in Loop: Header=BB127_2 Depth=1
	s_or_b64 exec, exec, s[14:15]
	v_add_u16_e32 v10, s20, v10
	v_and_b32_e32 v10, 0xff, v10
	ds_bpermute_b32 v10, v0, v10
	s_add_i32 s21, s21, -1
	s_cmp_lg_u32 s21, 0
	s_waitcnt lgkmcnt(0)
	; wave barrier
	s_waitcnt lgkmcnt(0)
	v_cndmask_b32_e64 v11, v10, v1, s[12:13]
	v_add_u16_e32 v10, v11, v8
	v_add_u16_e32 v9, v10, v9
	v_lshlrev_b16_e32 v8, 8, v10
	v_and_b32_e32 v12, 0xff, v9
	v_or_b32_sdwa v8, v11, v8 dst_sel:DWORD dst_unused:UNUSED_PAD src0_sel:BYTE_0 src1_sel:DWORD
	v_lshlrev_b32_e32 v12, 16, v12
	v_or_b32_sdwa v8, v8, v12 dst_sel:DWORD dst_unused:UNUSED_PAD src0_sel:WORD_0 src1_sel:DWORD
	s_cbranch_scc0 .LBB127_4
.LBB127_2:                              ; =>This Inner Loop Header: Depth=1
	v_lshrrev_b32_e32 v9, 8, v8
	v_add_u16_e32 v10, v9, v8
	v_add_u16_sdwa v10, v10, v8 dst_sel:DWORD dst_unused:UNUSED_PAD src0_sel:DWORD src1_sel:WORD_1
	v_and_b32_e32 v11, 0xff, v10
	s_nop 1
	v_mov_b32_dpp v11, v11 row_shr:1 row_mask:0xf bank_mask:0xf
	v_cndmask_b32_e64 v11, v11, 0, s[2:3]
	v_add_u16_e32 v10, v11, v10
	v_and_b32_e32 v11, 0xff, v10
	s_nop 1
	v_mov_b32_dpp v11, v11 row_shr:2 row_mask:0xf bank_mask:0xf
	v_cndmask_b32_e64 v11, 0, v11, s[4:5]
	v_add_u16_e32 v10, v10, v11
	v_and_b32_e32 v11, 0xff, v10
	s_nop 1
	v_mov_b32_dpp v11, v11 row_shr:4 row_mask:0xf bank_mask:0xf
	v_cndmask_b32_e64 v11, 0, v11, s[6:7]
	v_add_u16_e32 v10, v10, v11
	v_and_b32_e32 v11, 0xff, v10
	s_nop 1
	v_mov_b32_dpp v11, v11 row_shr:8 row_mask:0xf bank_mask:0xf
	v_cndmask_b32_e64 v11, 0, v11, s[8:9]
	v_add_u16_e32 v10, v10, v11
	v_and_b32_e32 v11, 0xff, v10
	s_nop 1
	v_mov_b32_dpp v11, v11 row_bcast:15 row_mask:0xf bank_mask:0xf
	v_cndmask_b32_e64 v11, v11, 0, s[10:11]
	v_add_u16_e32 v10, v10, v11
	v_and_b32_e32 v11, 0xff, v10
	s_nop 1
	v_mov_b32_dpp v11, v11 row_bcast:31 row_mask:0xf bank_mask:0xf
	v_cndmask_b32_e64 v11, 0, v11, s[0:1]
	v_add_u16_e32 v10, v10, v11
	s_and_saveexec_b64 s[14:15], vcc
	s_cbranch_execz .LBB127_1
; %bb.3:                                ;   in Loop: Header=BB127_2 Depth=1
	ds_write_b8 v3, v10
	s_branch .LBB127_1
.LBB127_4:
	v_lshl_add_u64 v[0:1], s[18:19], 0, v[2:3]
	global_store_byte v[0:1], v11, off
	v_lshl_add_u64 v[0:1], s[18:19], 0, v[4:5]
	global_store_byte v[0:1], v10, off
	;; [unrolled: 2-line block ×3, first 2 shown]
	s_endpgm
	.section	.rodata,"a",@progbits
	.p2align	6, 0x0
	.amdhsa_kernel _Z6kernelI14exclusive_scanILN6hipcub18BlockScanAlgorithmE1EEhLj64ELj3ELj100EEvPKT0_PS4_S4_
		.amdhsa_group_segment_fixed_size 1
		.amdhsa_private_segment_fixed_size 0
		.amdhsa_kernarg_size 280
		.amdhsa_user_sgpr_count 2
		.amdhsa_user_sgpr_dispatch_ptr 0
		.amdhsa_user_sgpr_queue_ptr 0
		.amdhsa_user_sgpr_kernarg_segment_ptr 1
		.amdhsa_user_sgpr_dispatch_id 0
		.amdhsa_user_sgpr_kernarg_preload_length 0
		.amdhsa_user_sgpr_kernarg_preload_offset 0
		.amdhsa_user_sgpr_private_segment_size 0
		.amdhsa_uses_dynamic_stack 0
		.amdhsa_enable_private_segment 0
		.amdhsa_system_sgpr_workgroup_id_x 1
		.amdhsa_system_sgpr_workgroup_id_y 0
		.amdhsa_system_sgpr_workgroup_id_z 0
		.amdhsa_system_sgpr_workgroup_info 0
		.amdhsa_system_vgpr_workitem_id 0
		.amdhsa_next_free_vgpr 14
		.amdhsa_next_free_sgpr 22
		.amdhsa_accum_offset 16
		.amdhsa_reserve_vcc 1
		.amdhsa_float_round_mode_32 0
		.amdhsa_float_round_mode_16_64 0
		.amdhsa_float_denorm_mode_32 3
		.amdhsa_float_denorm_mode_16_64 3
		.amdhsa_dx10_clamp 1
		.amdhsa_ieee_mode 1
		.amdhsa_fp16_overflow 0
		.amdhsa_tg_split 0
		.amdhsa_exception_fp_ieee_invalid_op 0
		.amdhsa_exception_fp_denorm_src 0
		.amdhsa_exception_fp_ieee_div_zero 0
		.amdhsa_exception_fp_ieee_overflow 0
		.amdhsa_exception_fp_ieee_underflow 0
		.amdhsa_exception_fp_ieee_inexact 0
		.amdhsa_exception_int_div_zero 0
	.end_amdhsa_kernel
	.section	.text._Z6kernelI14exclusive_scanILN6hipcub18BlockScanAlgorithmE1EEhLj64ELj3ELj100EEvPKT0_PS4_S4_,"axG",@progbits,_Z6kernelI14exclusive_scanILN6hipcub18BlockScanAlgorithmE1EEhLj64ELj3ELj100EEvPKT0_PS4_S4_,comdat
.Lfunc_end127:
	.size	_Z6kernelI14exclusive_scanILN6hipcub18BlockScanAlgorithmE1EEhLj64ELj3ELj100EEvPKT0_PS4_S4_, .Lfunc_end127-_Z6kernelI14exclusive_scanILN6hipcub18BlockScanAlgorithmE1EEhLj64ELj3ELj100EEvPKT0_PS4_S4_
                                        ; -- End function
	.section	.AMDGPU.csdata,"",@progbits
; Kernel info:
; codeLenInByte = 640
; NumSgprs: 28
; NumVgprs: 14
; NumAgprs: 0
; TotalNumVgprs: 14
; ScratchSize: 0
; MemoryBound: 0
; FloatMode: 240
; IeeeMode: 1
; LDSByteSize: 1 bytes/workgroup (compile time only)
; SGPRBlocks: 3
; VGPRBlocks: 1
; NumSGPRsForWavesPerEU: 28
; NumVGPRsForWavesPerEU: 14
; AccumOffset: 16
; Occupancy: 8
; WaveLimiterHint : 0
; COMPUTE_PGM_RSRC2:SCRATCH_EN: 0
; COMPUTE_PGM_RSRC2:USER_SGPR: 2
; COMPUTE_PGM_RSRC2:TRAP_HANDLER: 0
; COMPUTE_PGM_RSRC2:TGID_X_EN: 1
; COMPUTE_PGM_RSRC2:TGID_Y_EN: 0
; COMPUTE_PGM_RSRC2:TGID_Z_EN: 0
; COMPUTE_PGM_RSRC2:TIDIG_COMP_CNT: 0
; COMPUTE_PGM_RSRC3_GFX90A:ACCUM_OFFSET: 3
; COMPUTE_PGM_RSRC3_GFX90A:TG_SPLIT: 0
	.section	.text._Z6kernelI14exclusive_scanILN6hipcub18BlockScanAlgorithmE1EEhLj64ELj4ELj100EEvPKT0_PS4_S4_,"axG",@progbits,_Z6kernelI14exclusive_scanILN6hipcub18BlockScanAlgorithmE1EEhLj64ELj4ELj100EEvPKT0_PS4_S4_,comdat
	.protected	_Z6kernelI14exclusive_scanILN6hipcub18BlockScanAlgorithmE1EEhLj64ELj4ELj100EEvPKT0_PS4_S4_ ; -- Begin function _Z6kernelI14exclusive_scanILN6hipcub18BlockScanAlgorithmE1EEhLj64ELj4ELj100EEvPKT0_PS4_S4_
	.globl	_Z6kernelI14exclusive_scanILN6hipcub18BlockScanAlgorithmE1EEhLj64ELj4ELj100EEvPKT0_PS4_S4_
	.p2align	8
	.type	_Z6kernelI14exclusive_scanILN6hipcub18BlockScanAlgorithmE1EEhLj64ELj4ELj100EEvPKT0_PS4_S4_,@function
_Z6kernelI14exclusive_scanILN6hipcub18BlockScanAlgorithmE1EEhLj64ELj4ELj100EEvPKT0_PS4_S4_: ; @_Z6kernelI14exclusive_scanILN6hipcub18BlockScanAlgorithmE1EEhLj64ELj4ELj100EEvPKT0_PS4_S4_
; %bb.0:
	s_load_dword s3, s[0:1], 0x24
	s_load_dwordx4 s[16:19], s[0:1], 0x0
	s_load_dword s20, s[0:1], 0x10
	v_mbcnt_lo_u32_b32 v4, -1, 0
	v_mbcnt_hi_u32_b32 v5, -1, v4
	s_waitcnt lgkmcnt(0)
	s_and_b32 s0, s3, 0xffff
	s_mul_i32 s2, s2, s0
	v_add_lshl_u32 v2, s2, v0, 2
	global_load_dword v1, v2, s[16:17]
	v_and_b32_e32 v4, 15, v5
	v_cmp_eq_u32_e32 vcc, 0, v4
	v_cmp_lt_u32_e64 s[0:1], 1, v4
	v_cmp_lt_u32_e64 s[2:3], 3, v4
	v_cmp_lt_u32_e64 s[4:5], 7, v4
	v_and_b32_e32 v4, 16, v5
	v_cmp_eq_u32_e64 s[6:7], 0, v4
	v_add_u32_e32 v4, -1, v5
	v_and_b32_e32 v6, 64, v5
	v_cmp_lt_i32_e64 s[12:13], v4, v6
	v_cmp_eq_u32_e64 s[14:15], 0, v0
	v_mov_b32_e32 v3, 0
	v_cndmask_b32_e64 v4, v4, v5, s[12:13]
	v_cmp_eq_u32_e64 s[12:13], 0, v5
	v_cmp_lt_u32_e64 s[8:9], 31, v5
	v_cmp_eq_u32_e64 s[10:11], 63, v0
	v_lshlrev_b32_e32 v4, 2, v4
	s_or_b64 s[12:13], s[14:15], s[12:13]
	s_movk_i32 s16, 0x64
	v_mov_b32_e32 v0, s20
	s_branch .LBB128_2
.LBB128_1:                              ;   in Loop: Header=BB128_2 Depth=1
	s_or_b64 exec, exec, s[14:15]
	v_add_u16_e32 v6, s20, v6
	v_and_b32_e32 v6, 0xff, v6
	ds_bpermute_b32 v6, v4, v6
	s_add_i32 s16, s16, -1
	s_cmp_lg_u32 s16, 0
	s_waitcnt lgkmcnt(0)
	; wave barrier
	s_waitcnt lgkmcnt(0)
	v_cndmask_b32_e64 v6, v6, v0, s[12:13]
	v_add_u16_e32 v7, v6, v1
	v_add_u16_e32 v8, v7, v5
	v_add_u16_sdwa v1, v8, v1 dst_sel:DWORD dst_unused:UNUSED_PAD src0_sel:DWORD src1_sel:WORD_1
	v_lshlrev_b16_e32 v5, 8, v7
	v_lshlrev_b16_e32 v1, 8, v1
	v_or_b32_sdwa v5, v6, v5 dst_sel:DWORD dst_unused:UNUSED_PAD src0_sel:BYTE_0 src1_sel:DWORD
	v_or_b32_sdwa v6, v8, v1 dst_sel:WORD_1 dst_unused:UNUSED_PAD src0_sel:BYTE_0 src1_sel:DWORD
	s_nop 0
	v_or_b32_sdwa v1, v5, v6 dst_sel:DWORD dst_unused:UNUSED_PAD src0_sel:WORD_0 src1_sel:DWORD
	s_cbranch_scc0 .LBB128_4
.LBB128_2:                              ; =>This Inner Loop Header: Depth=1
	s_waitcnt vmcnt(0)
	v_lshrrev_b32_e32 v5, 8, v1
	v_add_u16_e32 v6, v5, v1
	v_add_u16_sdwa v6, v6, v1 dst_sel:DWORD dst_unused:UNUSED_PAD src0_sel:DWORD src1_sel:WORD_1
	v_add_u16_sdwa v6, v6, v1 dst_sel:DWORD dst_unused:UNUSED_PAD src0_sel:DWORD src1_sel:BYTE_3
	v_and_b32_e32 v7, 0xff, v6
	s_nop 1
	v_mov_b32_dpp v7, v7 row_shr:1 row_mask:0xf bank_mask:0xf
	v_cndmask_b32_e64 v7, v7, 0, vcc
	v_add_u16_e32 v6, v6, v7
	v_and_b32_e32 v7, 0xff, v6
	s_nop 1
	v_mov_b32_dpp v7, v7 row_shr:2 row_mask:0xf bank_mask:0xf
	v_cndmask_b32_e64 v7, 0, v7, s[0:1]
	v_add_u16_e32 v6, v6, v7
	v_and_b32_e32 v7, 0xff, v6
	s_nop 1
	v_mov_b32_dpp v7, v7 row_shr:4 row_mask:0xf bank_mask:0xf
	v_cndmask_b32_e64 v7, 0, v7, s[2:3]
	;; [unrolled: 5-line block ×3, first 2 shown]
	v_add_u16_e32 v6, v6, v7
	v_and_b32_e32 v7, 0xff, v6
	s_nop 1
	v_mov_b32_dpp v7, v7 row_bcast:15 row_mask:0xf bank_mask:0xf
	v_cndmask_b32_e64 v7, v7, 0, s[6:7]
	v_add_u16_e32 v6, v6, v7
	v_and_b32_e32 v7, 0xff, v6
	s_nop 1
	v_mov_b32_dpp v7, v7 row_bcast:31 row_mask:0xf bank_mask:0xf
	v_cndmask_b32_e64 v7, 0, v7, s[8:9]
	v_add_u16_e32 v6, v6, v7
	s_and_saveexec_b64 s[14:15], s[10:11]
	s_cbranch_execz .LBB128_1
; %bb.3:                                ;   in Loop: Header=BB128_2 Depth=1
	ds_write_b8 v3, v6
	s_branch .LBB128_1
.LBB128_4:
	v_lshl_add_u64 v[0:1], s[18:19], 0, v[2:3]
	v_or_b32_sdwa v2, v5, v6 dst_sel:DWORD dst_unused:UNUSED_PAD src0_sel:WORD_0 src1_sel:DWORD
	global_store_dword v[0:1], v2, off
	s_endpgm
	.section	.rodata,"a",@progbits
	.p2align	6, 0x0
	.amdhsa_kernel _Z6kernelI14exclusive_scanILN6hipcub18BlockScanAlgorithmE1EEhLj64ELj4ELj100EEvPKT0_PS4_S4_
		.amdhsa_group_segment_fixed_size 1
		.amdhsa_private_segment_fixed_size 0
		.amdhsa_kernarg_size 280
		.amdhsa_user_sgpr_count 2
		.amdhsa_user_sgpr_dispatch_ptr 0
		.amdhsa_user_sgpr_queue_ptr 0
		.amdhsa_user_sgpr_kernarg_segment_ptr 1
		.amdhsa_user_sgpr_dispatch_id 0
		.amdhsa_user_sgpr_kernarg_preload_length 0
		.amdhsa_user_sgpr_kernarg_preload_offset 0
		.amdhsa_user_sgpr_private_segment_size 0
		.amdhsa_uses_dynamic_stack 0
		.amdhsa_enable_private_segment 0
		.amdhsa_system_sgpr_workgroup_id_x 1
		.amdhsa_system_sgpr_workgroup_id_y 0
		.amdhsa_system_sgpr_workgroup_id_z 0
		.amdhsa_system_sgpr_workgroup_info 0
		.amdhsa_system_vgpr_workitem_id 0
		.amdhsa_next_free_vgpr 9
		.amdhsa_next_free_sgpr 21
		.amdhsa_accum_offset 12
		.amdhsa_reserve_vcc 1
		.amdhsa_float_round_mode_32 0
		.amdhsa_float_round_mode_16_64 0
		.amdhsa_float_denorm_mode_32 3
		.amdhsa_float_denorm_mode_16_64 3
		.amdhsa_dx10_clamp 1
		.amdhsa_ieee_mode 1
		.amdhsa_fp16_overflow 0
		.amdhsa_tg_split 0
		.amdhsa_exception_fp_ieee_invalid_op 0
		.amdhsa_exception_fp_denorm_src 0
		.amdhsa_exception_fp_ieee_div_zero 0
		.amdhsa_exception_fp_ieee_overflow 0
		.amdhsa_exception_fp_ieee_underflow 0
		.amdhsa_exception_fp_ieee_inexact 0
		.amdhsa_exception_int_div_zero 0
	.end_amdhsa_kernel
	.section	.text._Z6kernelI14exclusive_scanILN6hipcub18BlockScanAlgorithmE1EEhLj64ELj4ELj100EEvPKT0_PS4_S4_,"axG",@progbits,_Z6kernelI14exclusive_scanILN6hipcub18BlockScanAlgorithmE1EEhLj64ELj4ELj100EEvPKT0_PS4_S4_,comdat
.Lfunc_end128:
	.size	_Z6kernelI14exclusive_scanILN6hipcub18BlockScanAlgorithmE1EEhLj64ELj4ELj100EEvPKT0_PS4_S4_, .Lfunc_end128-_Z6kernelI14exclusive_scanILN6hipcub18BlockScanAlgorithmE1EEhLj64ELj4ELj100EEvPKT0_PS4_S4_
                                        ; -- End function
	.section	.AMDGPU.csdata,"",@progbits
; Kernel info:
; codeLenInByte = 568
; NumSgprs: 27
; NumVgprs: 9
; NumAgprs: 0
; TotalNumVgprs: 9
; ScratchSize: 0
; MemoryBound: 0
; FloatMode: 240
; IeeeMode: 1
; LDSByteSize: 1 bytes/workgroup (compile time only)
; SGPRBlocks: 3
; VGPRBlocks: 1
; NumSGPRsForWavesPerEU: 27
; NumVGPRsForWavesPerEU: 9
; AccumOffset: 12
; Occupancy: 8
; WaveLimiterHint : 0
; COMPUTE_PGM_RSRC2:SCRATCH_EN: 0
; COMPUTE_PGM_RSRC2:USER_SGPR: 2
; COMPUTE_PGM_RSRC2:TRAP_HANDLER: 0
; COMPUTE_PGM_RSRC2:TGID_X_EN: 1
; COMPUTE_PGM_RSRC2:TGID_Y_EN: 0
; COMPUTE_PGM_RSRC2:TGID_Z_EN: 0
; COMPUTE_PGM_RSRC2:TIDIG_COMP_CNT: 0
; COMPUTE_PGM_RSRC3_GFX90A:ACCUM_OFFSET: 2
; COMPUTE_PGM_RSRC3_GFX90A:TG_SPLIT: 0
	.section	.text._Z6kernelI14exclusive_scanILN6hipcub18BlockScanAlgorithmE1EEhLj64ELj8ELj100EEvPKT0_PS4_S4_,"axG",@progbits,_Z6kernelI14exclusive_scanILN6hipcub18BlockScanAlgorithmE1EEhLj64ELj8ELj100EEvPKT0_PS4_S4_,comdat
	.protected	_Z6kernelI14exclusive_scanILN6hipcub18BlockScanAlgorithmE1EEhLj64ELj8ELj100EEvPKT0_PS4_S4_ ; -- Begin function _Z6kernelI14exclusive_scanILN6hipcub18BlockScanAlgorithmE1EEhLj64ELj8ELj100EEvPKT0_PS4_S4_
	.globl	_Z6kernelI14exclusive_scanILN6hipcub18BlockScanAlgorithmE1EEhLj64ELj8ELj100EEvPKT0_PS4_S4_
	.p2align	8
	.type	_Z6kernelI14exclusive_scanILN6hipcub18BlockScanAlgorithmE1EEhLj64ELj8ELj100EEvPKT0_PS4_S4_,@function
_Z6kernelI14exclusive_scanILN6hipcub18BlockScanAlgorithmE1EEhLj64ELj8ELj100EEvPKT0_PS4_S4_: ; @_Z6kernelI14exclusive_scanILN6hipcub18BlockScanAlgorithmE1EEhLj64ELj8ELj100EEvPKT0_PS4_S4_
; %bb.0:
	s_load_dword s3, s[0:1], 0x24
	s_load_dwordx4 s[16:19], s[0:1], 0x0
	s_load_dword s20, s[0:1], 0x10
	v_mbcnt_lo_u32_b32 v1, -1, 0
	v_mbcnt_hi_u32_b32 v6, -1, v1
	s_waitcnt lgkmcnt(0)
	s_and_b32 s0, s3, 0xffff
	s_mul_i32 s2, s2, s0
	v_add_lshl_u32 v2, s2, v0, 3
	global_load_dwordx2 v[4:5], v2, s[16:17]
	v_and_b32_e32 v1, 15, v6
	v_cmp_eq_u32_e32 vcc, 0, v1
	v_cmp_lt_u32_e64 s[0:1], 1, v1
	v_cmp_lt_u32_e64 s[2:3], 3, v1
	;; [unrolled: 1-line block ×3, first 2 shown]
	v_and_b32_e32 v1, 16, v6
	v_cmp_eq_u32_e64 s[6:7], 0, v1
	v_add_u32_e32 v1, -1, v6
	v_and_b32_e32 v7, 64, v6
	v_cmp_lt_i32_e64 s[12:13], v1, v7
	v_cmp_eq_u32_e64 s[14:15], 0, v0
	v_mov_b32_e32 v3, 0
	v_cndmask_b32_e64 v1, v1, v6, s[12:13]
	v_cmp_eq_u32_e64 s[12:13], 0, v6
	v_cmp_lt_u32_e64 s[8:9], 31, v6
	v_cmp_eq_u32_e64 s[10:11], 63, v0
	v_lshlrev_b32_e32 v1, 2, v1
	s_or_b64 s[12:13], s[14:15], s[12:13]
	s_movk_i32 s16, 0x64
	v_mov_b32_e32 v0, s20
	s_branch .LBB129_2
.LBB129_1:                              ;   in Loop: Header=BB129_2 Depth=1
	s_or_b64 exec, exec, s[14:15]
	v_add_u16_e32 v8, s20, v8
	v_and_b32_e32 v8, 0xff, v8
	ds_bpermute_b32 v8, v1, v8
	s_add_i32 s16, s16, -1
	s_cmp_lg_u32 s16, 0
	s_waitcnt lgkmcnt(0)
	; wave barrier
	s_waitcnt lgkmcnt(0)
	v_cndmask_b32_e64 v8, v8, v0, s[12:13]
	v_add_u16_e32 v9, v8, v4
	v_add_u16_e32 v10, v9, v7
	v_lshlrev_b16_e32 v7, 8, v9
	v_add_u16_sdwa v9, v10, v4 dst_sel:DWORD dst_unused:UNUSED_PAD src0_sel:DWORD src1_sel:WORD_1
	v_or_b32_sdwa v7, v8, v7 dst_sel:DWORD dst_unused:UNUSED_PAD src0_sel:BYTE_0 src1_sel:DWORD
	v_add_u16_sdwa v8, v9, v4 dst_sel:DWORD dst_unused:UNUSED_PAD src0_sel:DWORD src1_sel:BYTE_3
	v_add_u16_e32 v11, v8, v5
	v_add_u16_e32 v12, v11, v6
	v_add_u16_sdwa v5, v12, v5 dst_sel:DWORD dst_unused:UNUSED_PAD src0_sel:DWORD src1_sel:WORD_1
	v_lshlrev_b16_e32 v4, 8, v9
	v_lshlrev_b16_e32 v9, 8, v11
	;; [unrolled: 1-line block ×3, first 2 shown]
	v_or_b32_sdwa v6, v10, v4 dst_sel:WORD_1 dst_unused:UNUSED_PAD src0_sel:BYTE_0 src1_sel:DWORD
	v_or_b32_sdwa v8, v8, v9 dst_sel:DWORD dst_unused:UNUSED_PAD src0_sel:BYTE_0 src1_sel:DWORD
	v_or_b32_sdwa v9, v12, v5 dst_sel:WORD_1 dst_unused:UNUSED_PAD src0_sel:BYTE_0 src1_sel:DWORD
	v_or_b32_sdwa v4, v7, v6 dst_sel:DWORD dst_unused:UNUSED_PAD src0_sel:WORD_0 src1_sel:DWORD
	v_or_b32_sdwa v5, v8, v9 dst_sel:DWORD dst_unused:UNUSED_PAD src0_sel:WORD_0 src1_sel:DWORD
	s_cbranch_scc0 .LBB129_4
.LBB129_2:                              ; =>This Inner Loop Header: Depth=1
	s_waitcnt vmcnt(0)
	v_lshrrev_b32_e32 v7, 8, v4
	v_add_u16_e32 v8, v7, v4
	v_add_u16_sdwa v8, v8, v4 dst_sel:DWORD dst_unused:UNUSED_PAD src0_sel:DWORD src1_sel:WORD_1
	v_add_u16_sdwa v8, v8, v4 dst_sel:DWORD dst_unused:UNUSED_PAD src0_sel:DWORD src1_sel:BYTE_3
	v_lshrrev_b32_e32 v6, 8, v5
	v_add_u16_e32 v8, v8, v5
	v_add_u16_e32 v8, v8, v6
	v_add_u16_sdwa v8, v8, v5 dst_sel:DWORD dst_unused:UNUSED_PAD src0_sel:DWORD src1_sel:WORD_1
	v_add_u16_sdwa v8, v8, v5 dst_sel:DWORD dst_unused:UNUSED_PAD src0_sel:DWORD src1_sel:BYTE_3
	v_and_b32_e32 v9, 0xff, v8
	s_nop 1
	v_mov_b32_dpp v9, v9 row_shr:1 row_mask:0xf bank_mask:0xf
	v_cndmask_b32_e64 v9, v9, 0, vcc
	v_add_u16_e32 v8, v8, v9
	v_and_b32_e32 v9, 0xff, v8
	s_nop 1
	v_mov_b32_dpp v9, v9 row_shr:2 row_mask:0xf bank_mask:0xf
	v_cndmask_b32_e64 v9, 0, v9, s[0:1]
	v_add_u16_e32 v8, v8, v9
	v_and_b32_e32 v9, 0xff, v8
	s_nop 1
	v_mov_b32_dpp v9, v9 row_shr:4 row_mask:0xf bank_mask:0xf
	v_cndmask_b32_e64 v9, 0, v9, s[2:3]
	;; [unrolled: 5-line block ×3, first 2 shown]
	v_add_u16_e32 v8, v8, v9
	v_and_b32_e32 v9, 0xff, v8
	s_nop 1
	v_mov_b32_dpp v9, v9 row_bcast:15 row_mask:0xf bank_mask:0xf
	v_cndmask_b32_e64 v9, v9, 0, s[6:7]
	v_add_u16_e32 v8, v8, v9
	v_and_b32_e32 v9, 0xff, v8
	s_nop 1
	v_mov_b32_dpp v9, v9 row_bcast:31 row_mask:0xf bank_mask:0xf
	v_cndmask_b32_e64 v9, 0, v9, s[8:9]
	v_add_u16_e32 v8, v8, v9
	s_and_saveexec_b64 s[14:15], s[10:11]
	s_cbranch_execz .LBB129_1
; %bb.3:                                ;   in Loop: Header=BB129_2 Depth=1
	ds_write_b8 v3, v8
	s_branch .LBB129_1
.LBB129_4:
	v_lshl_add_u64 v[0:1], s[18:19], 0, v[2:3]
	v_or_b32_sdwa v3, v8, v9 dst_sel:DWORD dst_unused:UNUSED_PAD src0_sel:WORD_0 src1_sel:DWORD
	v_or_b32_sdwa v2, v7, v6 dst_sel:DWORD dst_unused:UNUSED_PAD src0_sel:WORD_0 src1_sel:DWORD
	global_store_dwordx2 v[0:1], v[2:3], off
	s_endpgm
	.section	.rodata,"a",@progbits
	.p2align	6, 0x0
	.amdhsa_kernel _Z6kernelI14exclusive_scanILN6hipcub18BlockScanAlgorithmE1EEhLj64ELj8ELj100EEvPKT0_PS4_S4_
		.amdhsa_group_segment_fixed_size 1
		.amdhsa_private_segment_fixed_size 0
		.amdhsa_kernarg_size 280
		.amdhsa_user_sgpr_count 2
		.amdhsa_user_sgpr_dispatch_ptr 0
		.amdhsa_user_sgpr_queue_ptr 0
		.amdhsa_user_sgpr_kernarg_segment_ptr 1
		.amdhsa_user_sgpr_dispatch_id 0
		.amdhsa_user_sgpr_kernarg_preload_length 0
		.amdhsa_user_sgpr_kernarg_preload_offset 0
		.amdhsa_user_sgpr_private_segment_size 0
		.amdhsa_uses_dynamic_stack 0
		.amdhsa_enable_private_segment 0
		.amdhsa_system_sgpr_workgroup_id_x 1
		.amdhsa_system_sgpr_workgroup_id_y 0
		.amdhsa_system_sgpr_workgroup_id_z 0
		.amdhsa_system_sgpr_workgroup_info 0
		.amdhsa_system_vgpr_workitem_id 0
		.amdhsa_next_free_vgpr 13
		.amdhsa_next_free_sgpr 21
		.amdhsa_accum_offset 16
		.amdhsa_reserve_vcc 1
		.amdhsa_float_round_mode_32 0
		.amdhsa_float_round_mode_16_64 0
		.amdhsa_float_denorm_mode_32 3
		.amdhsa_float_denorm_mode_16_64 3
		.amdhsa_dx10_clamp 1
		.amdhsa_ieee_mode 1
		.amdhsa_fp16_overflow 0
		.amdhsa_tg_split 0
		.amdhsa_exception_fp_ieee_invalid_op 0
		.amdhsa_exception_fp_denorm_src 0
		.amdhsa_exception_fp_ieee_div_zero 0
		.amdhsa_exception_fp_ieee_overflow 0
		.amdhsa_exception_fp_ieee_underflow 0
		.amdhsa_exception_fp_ieee_inexact 0
		.amdhsa_exception_int_div_zero 0
	.end_amdhsa_kernel
	.section	.text._Z6kernelI14exclusive_scanILN6hipcub18BlockScanAlgorithmE1EEhLj64ELj8ELj100EEvPKT0_PS4_S4_,"axG",@progbits,_Z6kernelI14exclusive_scanILN6hipcub18BlockScanAlgorithmE1EEhLj64ELj8ELj100EEvPKT0_PS4_S4_,comdat
.Lfunc_end129:
	.size	_Z6kernelI14exclusive_scanILN6hipcub18BlockScanAlgorithmE1EEhLj64ELj8ELj100EEvPKT0_PS4_S4_, .Lfunc_end129-_Z6kernelI14exclusive_scanILN6hipcub18BlockScanAlgorithmE1EEhLj64ELj8ELj100EEvPKT0_PS4_S4_
                                        ; -- End function
	.section	.AMDGPU.csdata,"",@progbits
; Kernel info:
; codeLenInByte = 656
; NumSgprs: 27
; NumVgprs: 13
; NumAgprs: 0
; TotalNumVgprs: 13
; ScratchSize: 0
; MemoryBound: 0
; FloatMode: 240
; IeeeMode: 1
; LDSByteSize: 1 bytes/workgroup (compile time only)
; SGPRBlocks: 3
; VGPRBlocks: 1
; NumSGPRsForWavesPerEU: 27
; NumVGPRsForWavesPerEU: 13
; AccumOffset: 16
; Occupancy: 8
; WaveLimiterHint : 0
; COMPUTE_PGM_RSRC2:SCRATCH_EN: 0
; COMPUTE_PGM_RSRC2:USER_SGPR: 2
; COMPUTE_PGM_RSRC2:TRAP_HANDLER: 0
; COMPUTE_PGM_RSRC2:TGID_X_EN: 1
; COMPUTE_PGM_RSRC2:TGID_Y_EN: 0
; COMPUTE_PGM_RSRC2:TGID_Z_EN: 0
; COMPUTE_PGM_RSRC2:TIDIG_COMP_CNT: 0
; COMPUTE_PGM_RSRC3_GFX90A:ACCUM_OFFSET: 3
; COMPUTE_PGM_RSRC3_GFX90A:TG_SPLIT: 0
	.section	.text._Z6kernelI14exclusive_scanILN6hipcub18BlockScanAlgorithmE1EEhLj64ELj11ELj100EEvPKT0_PS4_S4_,"axG",@progbits,_Z6kernelI14exclusive_scanILN6hipcub18BlockScanAlgorithmE1EEhLj64ELj11ELj100EEvPKT0_PS4_S4_,comdat
	.protected	_Z6kernelI14exclusive_scanILN6hipcub18BlockScanAlgorithmE1EEhLj64ELj11ELj100EEvPKT0_PS4_S4_ ; -- Begin function _Z6kernelI14exclusive_scanILN6hipcub18BlockScanAlgorithmE1EEhLj64ELj11ELj100EEvPKT0_PS4_S4_
	.globl	_Z6kernelI14exclusive_scanILN6hipcub18BlockScanAlgorithmE1EEhLj64ELj11ELj100EEvPKT0_PS4_S4_
	.p2align	8
	.type	_Z6kernelI14exclusive_scanILN6hipcub18BlockScanAlgorithmE1EEhLj64ELj11ELj100EEvPKT0_PS4_S4_,@function
_Z6kernelI14exclusive_scanILN6hipcub18BlockScanAlgorithmE1EEhLj64ELj11ELj100EEvPKT0_PS4_S4_: ; @_Z6kernelI14exclusive_scanILN6hipcub18BlockScanAlgorithmE1EEhLj64ELj11ELj100EEvPKT0_PS4_S4_
; %bb.0:
	s_load_dword s3, s[0:1], 0x24
	s_load_dwordx4 s[16:19], s[0:1], 0x0
	s_load_dword s20, s[0:1], 0x10
	v_mbcnt_lo_u32_b32 v34, -1, 0
	v_mbcnt_hi_u32_b32 v34, -1, v34
	s_waitcnt lgkmcnt(0)
	s_and_b32 s0, s3, 0xffff
	s_mul_i32 s2, s2, s0
	v_add_u32_e32 v1, s2, v0
	v_mul_lo_u32 v2, v1, 11
	v_add_u32_e32 v6, 3, v2
	v_add_u32_e32 v4, 1, v2
	global_load_ubyte v26, v2, s[16:17]
	global_load_ubyte v27, v4, s[16:17]
	v_add_u32_e32 v8, 4, v2
	v_add_u32_e32 v10, 5, v2
	;; [unrolled: 1-line block ×4, first 2 shown]
	global_load_ubyte v28, v6, s[16:17]
	global_load_ubyte v29, v8, s[16:17]
	global_load_ubyte v30, v10, s[16:17]
	global_load_ubyte v31, v12, s[16:17]
	global_load_ubyte v32, v14, s[16:17]
	v_add_u32_e32 v22, 2, v2
	global_load_ubyte v33, v22, s[16:17]
	v_add_u32_e32 v16, 8, v2
	v_add_u32_e32 v18, 9, v2
	;; [unrolled: 1-line block ×3, first 2 shown]
	global_load_ubyte v1, v16, s[16:17]
	global_load_ubyte v24, v18, s[16:17]
	;; [unrolled: 1-line block ×3, first 2 shown]
	v_add_u32_e32 v36, -1, v34
	v_and_b32_e32 v37, 64, v34
	v_cmp_eq_u32_e32 vcc, 63, v0
	v_cmp_eq_u32_e64 s[12:13], 0, v0
	v_and_b32_e32 v0, 15, v34
	v_cmp_lt_i32_e64 s[16:17], v36, v37
	v_mov_b32_e32 v3, 0
	v_and_b32_e32 v35, 16, v34
	v_cmp_eq_u32_e64 s[14:15], 0, v34
	v_cmp_eq_u32_e64 s[2:3], 0, v0
	v_cmp_lt_u32_e64 s[4:5], 1, v0
	v_cmp_lt_u32_e64 s[6:7], 3, v0
	;; [unrolled: 1-line block ×3, first 2 shown]
	v_cndmask_b32_e64 v0, v36, v34, s[16:17]
	v_mov_b32_e32 v5, v3
	v_mov_b32_e32 v23, v3
	;; [unrolled: 1-line block ×10, first 2 shown]
	v_cmp_lt_u32_e64 s[0:1], 31, v34
	v_cmp_eq_u32_e64 s[10:11], 0, v35
	s_or_b64 s[12:13], s[12:13], s[14:15]
	v_lshlrev_b32_e32 v0, 2, v0
	s_movk_i32 s16, 0x64
	s_waitcnt vmcnt(9)
	v_lshlrev_b16_e32 v27, 8, v27
	s_waitcnt vmcnt(8)
	v_lshlrev_b16_e32 v28, 8, v28
	v_or_b32_e32 v26, v26, v27
	s_waitcnt vmcnt(6)
	v_lshlrev_b16_e32 v30, 8, v30
	s_waitcnt vmcnt(4)
	v_lshlrev_b16_e32 v32, 8, v32
	s_waitcnt vmcnt(3)
	v_or_b32_sdwa v27, v33, v28 dst_sel:WORD_1 dst_unused:UNUSED_PAD src0_sel:DWORD src1_sel:DWORD
	v_or_b32_e32 v28, v29, v30
	v_or_b32_sdwa v29, v31, v32 dst_sel:WORD_1 dst_unused:UNUSED_PAD src0_sel:DWORD src1_sel:DWORD
	v_or_b32_sdwa v26, v26, v27 dst_sel:DWORD dst_unused:UNUSED_PAD src0_sel:WORD_0 src1_sel:DWORD
	v_or_b32_sdwa v27, v28, v29 dst_sel:DWORD dst_unused:UNUSED_PAD src0_sel:WORD_0 src1_sel:DWORD
.LBB130_1:                              ; =>This Inner Loop Header: Depth=1
	v_lshrrev_b32_e32 v29, 8, v26
	v_add_u16_e32 v30, v29, v26
	v_add_u16_sdwa v30, v30, v26 dst_sel:DWORD dst_unused:UNUSED_PAD src0_sel:DWORD src1_sel:WORD_1
	v_add_u16_sdwa v30, v30, v26 dst_sel:DWORD dst_unused:UNUSED_PAD src0_sel:DWORD src1_sel:BYTE_3
	v_lshrrev_b32_e32 v28, 8, v27
	v_add_u16_e32 v30, v30, v27
	v_add_u16_e32 v30, v30, v28
	v_add_u16_sdwa v30, v30, v27 dst_sel:DWORD dst_unused:UNUSED_PAD src0_sel:DWORD src1_sel:WORD_1
	v_add_u16_sdwa v30, v30, v27 dst_sel:DWORD dst_unused:UNUSED_PAD src0_sel:DWORD src1_sel:BYTE_3
	s_waitcnt vmcnt(2)
	v_add_u16_e32 v30, v30, v1
	s_waitcnt vmcnt(1)
	v_add_u16_e32 v30, v30, v24
	;; [unrolled: 2-line block ×3, first 2 shown]
	v_and_b32_e32 v30, 0xff, v25
	s_nop 1
	v_mov_b32_dpp v30, v30 row_shr:1 row_mask:0xf bank_mask:0xf
	v_cndmask_b32_e64 v30, v30, 0, s[2:3]
	v_add_u16_e32 v25, v25, v30
	v_and_b32_e32 v30, 0xff, v25
	s_nop 1
	v_mov_b32_dpp v30, v30 row_shr:2 row_mask:0xf bank_mask:0xf
	v_cndmask_b32_e64 v30, 0, v30, s[4:5]
	v_add_u16_e32 v25, v25, v30
	;; [unrolled: 5-line block ×4, first 2 shown]
	v_and_b32_e32 v30, 0xff, v25
	s_nop 1
	v_mov_b32_dpp v30, v30 row_bcast:15 row_mask:0xf bank_mask:0xf
	v_cndmask_b32_e64 v30, v30, 0, s[10:11]
	v_add_u16_e32 v25, v25, v30
	v_and_b32_e32 v30, 0xff, v25
	s_nop 1
	v_mov_b32_dpp v30, v30 row_bcast:31 row_mask:0xf bank_mask:0xf
	v_cndmask_b32_e64 v30, 0, v30, s[0:1]
	v_add_u16_e32 v25, v25, v30
	s_and_saveexec_b64 s[14:15], vcc
	s_cbranch_execz .LBB130_3
; %bb.2:                                ;   in Loop: Header=BB130_1 Depth=1
	ds_write_b8 v3, v25
.LBB130_3:                              ;   in Loop: Header=BB130_1 Depth=1
	s_or_b64 exec, exec, s[14:15]
	v_add_u16_e32 v25, s20, v25
	v_and_b32_e32 v25, 0xff, v25
	ds_bpermute_b32 v25, v0, v25
	v_mov_b32_e32 v30, s20
	s_add_i32 s16, s16, -1
	s_cmp_lg_u32 s16, 0
	s_waitcnt lgkmcnt(0)
	v_cndmask_b32_e64 v32, v25, v30, s[12:13]
	v_add_u16_e32 v31, v32, v26
	v_add_u16_e32 v30, v31, v29
	v_add_u16_sdwa v37, v30, v26 dst_sel:DWORD dst_unused:UNUSED_PAD src0_sel:DWORD src1_sel:WORD_1
	v_add_u16_sdwa v36, v37, v26 dst_sel:DWORD dst_unused:UNUSED_PAD src0_sel:DWORD src1_sel:BYTE_3
	v_add_u16_e32 v35, v36, v27
	v_add_u16_e32 v34, v35, v28
	v_add_u16_sdwa v33, v34, v27 dst_sel:DWORD dst_unused:UNUSED_PAD src0_sel:DWORD src1_sel:WORD_1
	v_add_u16_sdwa v29, v33, v27 dst_sel:DWORD dst_unused:UNUSED_PAD src0_sel:DWORD src1_sel:BYTE_3
	v_add_u16_e32 v28, v29, v1
	v_lshlrev_b16_e32 v38, 8, v31
	v_add_u16_e32 v25, v28, v24
	v_lshlrev_b16_e32 v24, 8, v37
	v_or_b32_sdwa v1, v32, v38 dst_sel:DWORD dst_unused:UNUSED_PAD src0_sel:BYTE_0 src1_sel:DWORD
	v_or_b32_sdwa v24, v30, v24 dst_sel:WORD_1 dst_unused:UNUSED_PAD src0_sel:BYTE_0 src1_sel:DWORD
	; wave barrier
	s_nop 0
	v_or_b32_sdwa v26, v1, v24 dst_sel:DWORD dst_unused:UNUSED_PAD src0_sel:WORD_0 src1_sel:DWORD
	v_lshlrev_b16_e32 v1, 8, v35
	v_lshlrev_b16_e32 v24, 8, v33
	v_or_b32_sdwa v1, v36, v1 dst_sel:DWORD dst_unused:UNUSED_PAD src0_sel:BYTE_0 src1_sel:DWORD
	v_or_b32_sdwa v24, v34, v24 dst_sel:WORD_1 dst_unused:UNUSED_PAD src0_sel:BYTE_0 src1_sel:DWORD
	s_nop 0
	v_or_b32_sdwa v27, v1, v24 dst_sel:DWORD dst_unused:UNUSED_PAD src0_sel:WORD_0 src1_sel:DWORD
	s_cbranch_scc0 .LBB130_5
; %bb.4:                                ;   in Loop: Header=BB130_1 Depth=1
	v_mov_b32_e32 v1, v29
	v_mov_b32_e32 v24, v28
	s_branch .LBB130_1
.LBB130_5:
	v_lshl_add_u64 v[0:1], s[18:19], 0, v[2:3]
	global_store_byte v[0:1], v32, off
	v_lshl_add_u64 v[0:1], s[18:19], 0, v[4:5]
	global_store_byte v[0:1], v31, off
	;; [unrolled: 2-line block ×11, first 2 shown]
	s_endpgm
	.section	.rodata,"a",@progbits
	.p2align	6, 0x0
	.amdhsa_kernel _Z6kernelI14exclusive_scanILN6hipcub18BlockScanAlgorithmE1EEhLj64ELj11ELj100EEvPKT0_PS4_S4_
		.amdhsa_group_segment_fixed_size 1
		.amdhsa_private_segment_fixed_size 0
		.amdhsa_kernarg_size 280
		.amdhsa_user_sgpr_count 2
		.amdhsa_user_sgpr_dispatch_ptr 0
		.amdhsa_user_sgpr_queue_ptr 0
		.amdhsa_user_sgpr_kernarg_segment_ptr 1
		.amdhsa_user_sgpr_dispatch_id 0
		.amdhsa_user_sgpr_kernarg_preload_length 0
		.amdhsa_user_sgpr_kernarg_preload_offset 0
		.amdhsa_user_sgpr_private_segment_size 0
		.amdhsa_uses_dynamic_stack 0
		.amdhsa_enable_private_segment 0
		.amdhsa_system_sgpr_workgroup_id_x 1
		.amdhsa_system_sgpr_workgroup_id_y 0
		.amdhsa_system_sgpr_workgroup_id_z 0
		.amdhsa_system_sgpr_workgroup_info 0
		.amdhsa_system_vgpr_workitem_id 0
		.amdhsa_next_free_vgpr 39
		.amdhsa_next_free_sgpr 21
		.amdhsa_accum_offset 40
		.amdhsa_reserve_vcc 1
		.amdhsa_float_round_mode_32 0
		.amdhsa_float_round_mode_16_64 0
		.amdhsa_float_denorm_mode_32 3
		.amdhsa_float_denorm_mode_16_64 3
		.amdhsa_dx10_clamp 1
		.amdhsa_ieee_mode 1
		.amdhsa_fp16_overflow 0
		.amdhsa_tg_split 0
		.amdhsa_exception_fp_ieee_invalid_op 0
		.amdhsa_exception_fp_denorm_src 0
		.amdhsa_exception_fp_ieee_div_zero 0
		.amdhsa_exception_fp_ieee_overflow 0
		.amdhsa_exception_fp_ieee_underflow 0
		.amdhsa_exception_fp_ieee_inexact 0
		.amdhsa_exception_int_div_zero 0
	.end_amdhsa_kernel
	.section	.text._Z6kernelI14exclusive_scanILN6hipcub18BlockScanAlgorithmE1EEhLj64ELj11ELj100EEvPKT0_PS4_S4_,"axG",@progbits,_Z6kernelI14exclusive_scanILN6hipcub18BlockScanAlgorithmE1EEhLj64ELj11ELj100EEvPKT0_PS4_S4_,comdat
.Lfunc_end130:
	.size	_Z6kernelI14exclusive_scanILN6hipcub18BlockScanAlgorithmE1EEhLj64ELj11ELj100EEvPKT0_PS4_S4_, .Lfunc_end130-_Z6kernelI14exclusive_scanILN6hipcub18BlockScanAlgorithmE1EEhLj64ELj11ELj100EEvPKT0_PS4_S4_
                                        ; -- End function
	.section	.AMDGPU.csdata,"",@progbits
; Kernel info:
; codeLenInByte = 1084
; NumSgprs: 27
; NumVgprs: 39
; NumAgprs: 0
; TotalNumVgprs: 39
; ScratchSize: 0
; MemoryBound: 0
; FloatMode: 240
; IeeeMode: 1
; LDSByteSize: 1 bytes/workgroup (compile time only)
; SGPRBlocks: 3
; VGPRBlocks: 4
; NumSGPRsForWavesPerEU: 27
; NumVGPRsForWavesPerEU: 39
; AccumOffset: 40
; Occupancy: 8
; WaveLimiterHint : 0
; COMPUTE_PGM_RSRC2:SCRATCH_EN: 0
; COMPUTE_PGM_RSRC2:USER_SGPR: 2
; COMPUTE_PGM_RSRC2:TRAP_HANDLER: 0
; COMPUTE_PGM_RSRC2:TGID_X_EN: 1
; COMPUTE_PGM_RSRC2:TGID_Y_EN: 0
; COMPUTE_PGM_RSRC2:TGID_Z_EN: 0
; COMPUTE_PGM_RSRC2:TIDIG_COMP_CNT: 0
; COMPUTE_PGM_RSRC3_GFX90A:ACCUM_OFFSET: 9
; COMPUTE_PGM_RSRC3_GFX90A:TG_SPLIT: 0
	.section	.text._Z6kernelI14exclusive_scanILN6hipcub18BlockScanAlgorithmE1EEhLj64ELj16ELj100EEvPKT0_PS4_S4_,"axG",@progbits,_Z6kernelI14exclusive_scanILN6hipcub18BlockScanAlgorithmE1EEhLj64ELj16ELj100EEvPKT0_PS4_S4_,comdat
	.protected	_Z6kernelI14exclusive_scanILN6hipcub18BlockScanAlgorithmE1EEhLj64ELj16ELj100EEvPKT0_PS4_S4_ ; -- Begin function _Z6kernelI14exclusive_scanILN6hipcub18BlockScanAlgorithmE1EEhLj64ELj16ELj100EEvPKT0_PS4_S4_
	.globl	_Z6kernelI14exclusive_scanILN6hipcub18BlockScanAlgorithmE1EEhLj64ELj16ELj100EEvPKT0_PS4_S4_
	.p2align	8
	.type	_Z6kernelI14exclusive_scanILN6hipcub18BlockScanAlgorithmE1EEhLj64ELj16ELj100EEvPKT0_PS4_S4_,@function
_Z6kernelI14exclusive_scanILN6hipcub18BlockScanAlgorithmE1EEhLj64ELj16ELj100EEvPKT0_PS4_S4_: ; @_Z6kernelI14exclusive_scanILN6hipcub18BlockScanAlgorithmE1EEhLj64ELj16ELj100EEvPKT0_PS4_S4_
; %bb.0:
	s_load_dword s3, s[0:1], 0x24
	s_load_dwordx4 s[16:19], s[0:1], 0x0
	s_load_dword s20, s[0:1], 0x10
	v_mbcnt_lo_u32_b32 v1, -1, 0
	v_mbcnt_hi_u32_b32 v8, -1, v1
	s_waitcnt lgkmcnt(0)
	s_and_b32 s0, s3, 0xffff
	s_mul_i32 s2, s2, s0
	v_add_lshl_u32 v6, s2, v0, 4
	global_load_dwordx4 v[2:5], v6, s[16:17]
	v_and_b32_e32 v1, 15, v8
	v_cmp_eq_u32_e32 vcc, 0, v1
	v_cmp_lt_u32_e64 s[0:1], 1, v1
	v_cmp_lt_u32_e64 s[2:3], 3, v1
	;; [unrolled: 1-line block ×3, first 2 shown]
	v_and_b32_e32 v1, 16, v8
	v_cmp_eq_u32_e64 s[6:7], 0, v1
	v_add_u32_e32 v1, -1, v8
	v_and_b32_e32 v9, 64, v8
	v_cmp_lt_i32_e64 s[12:13], v1, v9
	v_cmp_eq_u32_e64 s[14:15], 0, v0
	v_mov_b32_e32 v7, 0
	v_cndmask_b32_e64 v1, v1, v8, s[12:13]
	v_cmp_eq_u32_e64 s[12:13], 0, v8
	v_cmp_lt_u32_e64 s[8:9], 31, v8
	v_cmp_eq_u32_e64 s[10:11], 63, v0
	v_lshlrev_b32_e32 v1, 2, v1
	s_or_b64 s[12:13], s[14:15], s[12:13]
	s_movk_i32 s16, 0x64
	v_mov_b32_e32 v0, s20
	s_branch .LBB131_2
.LBB131_1:                              ;   in Loop: Header=BB131_2 Depth=1
	s_or_b64 exec, exec, s[14:15]
	v_add_u16_e32 v12, s20, v12
	v_and_b32_e32 v12, 0xff, v12
	ds_bpermute_b32 v12, v1, v12
	s_add_i32 s16, s16, -1
	s_cmp_lg_u32 s16, 0
	s_waitcnt lgkmcnt(0)
	; wave barrier
	s_waitcnt lgkmcnt(0)
	v_cndmask_b32_e64 v12, v12, v0, s[12:13]
	v_add_u16_e32 v13, v12, v2
	v_add_u16_e32 v14, v13, v11
	v_lshlrev_b16_e32 v11, 8, v13
	v_add_u16_sdwa v13, v14, v2 dst_sel:DWORD dst_unused:UNUSED_PAD src0_sel:DWORD src1_sel:WORD_1
	v_or_b32_sdwa v11, v12, v11 dst_sel:DWORD dst_unused:UNUSED_PAD src0_sel:BYTE_0 src1_sel:DWORD
	v_add_u16_sdwa v12, v13, v2 dst_sel:DWORD dst_unused:UNUSED_PAD src0_sel:DWORD src1_sel:BYTE_3
	v_add_u16_e32 v15, v12, v3
	v_add_u16_e32 v16, v15, v9
	v_add_u16_sdwa v17, v16, v3 dst_sel:DWORD dst_unused:UNUSED_PAD src0_sel:DWORD src1_sel:WORD_1
	v_add_u16_sdwa v18, v17, v3 dst_sel:DWORD dst_unused:UNUSED_PAD src0_sel:DWORD src1_sel:BYTE_3
	v_add_u16_e32 v19, v18, v4
	v_add_u16_e32 v20, v19, v10
	v_add_u16_sdwa v21, v20, v4 dst_sel:DWORD dst_unused:UNUSED_PAD src0_sel:DWORD src1_sel:WORD_1
	;; [unrolled: 4-line block ×3, first 2 shown]
	v_lshlrev_b16_e32 v2, 8, v13
	v_lshlrev_b16_e32 v3, 8, v15
	;; [unrolled: 1-line block ×3, first 2 shown]
	v_or_b32_sdwa v8, v14, v2 dst_sel:WORD_1 dst_unused:UNUSED_PAD src0_sel:BYTE_0 src1_sel:DWORD
	v_or_b32_sdwa v9, v12, v3 dst_sel:DWORD dst_unused:UNUSED_PAD src0_sel:BYTE_0 src1_sel:DWORD
	v_lshlrev_b16_e32 v3, 8, v17
	v_or_b32_sdwa v12, v18, v4 dst_sel:DWORD dst_unused:UNUSED_PAD src0_sel:BYTE_0 src1_sel:DWORD
	v_lshlrev_b16_e32 v4, 8, v21
	v_lshlrev_b16_e32 v14, 8, v23
	;; [unrolled: 1-line block ×3, first 2 shown]
	v_or_b32_sdwa v10, v16, v3 dst_sel:WORD_1 dst_unused:UNUSED_PAD src0_sel:BYTE_0 src1_sel:DWORD
	v_or_b32_sdwa v13, v20, v4 dst_sel:WORD_1 dst_unused:UNUSED_PAD src0_sel:BYTE_0 src1_sel:DWORD
	v_or_b32_sdwa v14, v22, v14 dst_sel:DWORD dst_unused:UNUSED_PAD src0_sel:BYTE_0 src1_sel:DWORD
	v_or_b32_sdwa v15, v24, v5 dst_sel:WORD_1 dst_unused:UNUSED_PAD src0_sel:BYTE_0 src1_sel:DWORD
	v_or_b32_sdwa v2, v11, v8 dst_sel:DWORD dst_unused:UNUSED_PAD src0_sel:WORD_0 src1_sel:DWORD
	v_or_b32_sdwa v3, v9, v10 dst_sel:DWORD dst_unused:UNUSED_PAD src0_sel:WORD_0 src1_sel:DWORD
	;; [unrolled: 1-line block ×4, first 2 shown]
	s_cbranch_scc0 .LBB131_4
.LBB131_2:                              ; =>This Inner Loop Header: Depth=1
	s_waitcnt vmcnt(0)
	v_lshrrev_b32_e32 v11, 8, v2
	v_add_u16_e32 v10, v11, v2
	v_add_u16_sdwa v10, v10, v2 dst_sel:DWORD dst_unused:UNUSED_PAD src0_sel:DWORD src1_sel:WORD_1
	v_add_u16_sdwa v10, v10, v2 dst_sel:DWORD dst_unused:UNUSED_PAD src0_sel:DWORD src1_sel:BYTE_3
	v_lshrrev_b32_e32 v9, 8, v3
	v_add_u16_e32 v10, v10, v3
	v_add_u16_e32 v10, v10, v9
	v_add_u16_sdwa v10, v10, v3 dst_sel:DWORD dst_unused:UNUSED_PAD src0_sel:DWORD src1_sel:WORD_1
	v_add_u16_sdwa v10, v10, v3 dst_sel:DWORD dst_unused:UNUSED_PAD src0_sel:DWORD src1_sel:BYTE_3
	v_add_u16_e32 v12, v10, v4
	v_lshrrev_b32_e32 v10, 8, v4
	v_add_u16_e32 v12, v12, v10
	v_add_u16_sdwa v12, v12, v4 dst_sel:DWORD dst_unused:UNUSED_PAD src0_sel:DWORD src1_sel:WORD_1
	v_add_u16_sdwa v12, v12, v4 dst_sel:DWORD dst_unused:UNUSED_PAD src0_sel:DWORD src1_sel:BYTE_3
	v_lshrrev_b32_e32 v8, 8, v5
	v_add_u16_e32 v12, v12, v5
	v_add_u16_e32 v12, v12, v8
	v_add_u16_sdwa v12, v12, v5 dst_sel:DWORD dst_unused:UNUSED_PAD src0_sel:DWORD src1_sel:WORD_1
	v_add_u16_sdwa v12, v12, v5 dst_sel:DWORD dst_unused:UNUSED_PAD src0_sel:DWORD src1_sel:BYTE_3
	v_and_b32_e32 v13, 0xff, v12
	s_nop 1
	v_mov_b32_dpp v13, v13 row_shr:1 row_mask:0xf bank_mask:0xf
	v_cndmask_b32_e64 v13, v13, 0, vcc
	v_add_u16_e32 v12, v12, v13
	v_and_b32_e32 v13, 0xff, v12
	s_nop 1
	v_mov_b32_dpp v13, v13 row_shr:2 row_mask:0xf bank_mask:0xf
	v_cndmask_b32_e64 v13, 0, v13, s[0:1]
	v_add_u16_e32 v12, v12, v13
	v_and_b32_e32 v13, 0xff, v12
	s_nop 1
	v_mov_b32_dpp v13, v13 row_shr:4 row_mask:0xf bank_mask:0xf
	v_cndmask_b32_e64 v13, 0, v13, s[2:3]
	;; [unrolled: 5-line block ×3, first 2 shown]
	v_add_u16_e32 v12, v12, v13
	v_and_b32_e32 v13, 0xff, v12
	s_nop 1
	v_mov_b32_dpp v13, v13 row_bcast:15 row_mask:0xf bank_mask:0xf
	v_cndmask_b32_e64 v13, v13, 0, s[6:7]
	v_add_u16_e32 v12, v12, v13
	v_and_b32_e32 v13, 0xff, v12
	s_nop 1
	v_mov_b32_dpp v13, v13 row_bcast:31 row_mask:0xf bank_mask:0xf
	v_cndmask_b32_e64 v13, 0, v13, s[8:9]
	v_add_u16_e32 v12, v12, v13
	s_and_saveexec_b64 s[14:15], s[10:11]
	s_cbranch_execz .LBB131_1
; %bb.3:                                ;   in Loop: Header=BB131_2 Depth=1
	ds_write_b8 v7, v12
	s_branch .LBB131_1
.LBB131_4:
	v_lshl_add_u64 v[4:5], s[18:19], 0, v[6:7]
	v_or_b32_sdwa v3, v14, v15 dst_sel:DWORD dst_unused:UNUSED_PAD src0_sel:WORD_0 src1_sel:DWORD
	v_or_b32_sdwa v2, v12, v13 dst_sel:DWORD dst_unused:UNUSED_PAD src0_sel:WORD_0 src1_sel:DWORD
	;; [unrolled: 1-line block ×4, first 2 shown]
	global_store_dwordx4 v[4:5], v[0:3], off
	s_endpgm
	.section	.rodata,"a",@progbits
	.p2align	6, 0x0
	.amdhsa_kernel _Z6kernelI14exclusive_scanILN6hipcub18BlockScanAlgorithmE1EEhLj64ELj16ELj100EEvPKT0_PS4_S4_
		.amdhsa_group_segment_fixed_size 1
		.amdhsa_private_segment_fixed_size 0
		.amdhsa_kernarg_size 280
		.amdhsa_user_sgpr_count 2
		.amdhsa_user_sgpr_dispatch_ptr 0
		.amdhsa_user_sgpr_queue_ptr 0
		.amdhsa_user_sgpr_kernarg_segment_ptr 1
		.amdhsa_user_sgpr_dispatch_id 0
		.amdhsa_user_sgpr_kernarg_preload_length 0
		.amdhsa_user_sgpr_kernarg_preload_offset 0
		.amdhsa_user_sgpr_private_segment_size 0
		.amdhsa_uses_dynamic_stack 0
		.amdhsa_enable_private_segment 0
		.amdhsa_system_sgpr_workgroup_id_x 1
		.amdhsa_system_sgpr_workgroup_id_y 0
		.amdhsa_system_sgpr_workgroup_id_z 0
		.amdhsa_system_sgpr_workgroup_info 0
		.amdhsa_system_vgpr_workitem_id 0
		.amdhsa_next_free_vgpr 25
		.amdhsa_next_free_sgpr 21
		.amdhsa_accum_offset 28
		.amdhsa_reserve_vcc 1
		.amdhsa_float_round_mode_32 0
		.amdhsa_float_round_mode_16_64 0
		.amdhsa_float_denorm_mode_32 3
		.amdhsa_float_denorm_mode_16_64 3
		.amdhsa_dx10_clamp 1
		.amdhsa_ieee_mode 1
		.amdhsa_fp16_overflow 0
		.amdhsa_tg_split 0
		.amdhsa_exception_fp_ieee_invalid_op 0
		.amdhsa_exception_fp_denorm_src 0
		.amdhsa_exception_fp_ieee_div_zero 0
		.amdhsa_exception_fp_ieee_overflow 0
		.amdhsa_exception_fp_ieee_underflow 0
		.amdhsa_exception_fp_ieee_inexact 0
		.amdhsa_exception_int_div_zero 0
	.end_amdhsa_kernel
	.section	.text._Z6kernelI14exclusive_scanILN6hipcub18BlockScanAlgorithmE1EEhLj64ELj16ELj100EEvPKT0_PS4_S4_,"axG",@progbits,_Z6kernelI14exclusive_scanILN6hipcub18BlockScanAlgorithmE1EEhLj64ELj16ELj100EEvPKT0_PS4_S4_,comdat
.Lfunc_end131:
	.size	_Z6kernelI14exclusive_scanILN6hipcub18BlockScanAlgorithmE1EEhLj64ELj16ELj100EEvPKT0_PS4_S4_, .Lfunc_end131-_Z6kernelI14exclusive_scanILN6hipcub18BlockScanAlgorithmE1EEhLj64ELj16ELj100EEvPKT0_PS4_S4_
                                        ; -- End function
	.section	.AMDGPU.csdata,"",@progbits
; Kernel info:
; codeLenInByte = 840
; NumSgprs: 27
; NumVgprs: 25
; NumAgprs: 0
; TotalNumVgprs: 25
; ScratchSize: 0
; MemoryBound: 0
; FloatMode: 240
; IeeeMode: 1
; LDSByteSize: 1 bytes/workgroup (compile time only)
; SGPRBlocks: 3
; VGPRBlocks: 3
; NumSGPRsForWavesPerEU: 27
; NumVGPRsForWavesPerEU: 25
; AccumOffset: 28
; Occupancy: 8
; WaveLimiterHint : 0
; COMPUTE_PGM_RSRC2:SCRATCH_EN: 0
; COMPUTE_PGM_RSRC2:USER_SGPR: 2
; COMPUTE_PGM_RSRC2:TRAP_HANDLER: 0
; COMPUTE_PGM_RSRC2:TGID_X_EN: 1
; COMPUTE_PGM_RSRC2:TGID_Y_EN: 0
; COMPUTE_PGM_RSRC2:TGID_Z_EN: 0
; COMPUTE_PGM_RSRC2:TIDIG_COMP_CNT: 0
; COMPUTE_PGM_RSRC3_GFX90A:ACCUM_OFFSET: 6
; COMPUTE_PGM_RSRC3_GFX90A:TG_SPLIT: 0
	.section	.text._Z6kernelI14exclusive_scanILN6hipcub18BlockScanAlgorithmE1EEiLj256ELj1ELj100EEvPKT0_PS4_S4_,"axG",@progbits,_Z6kernelI14exclusive_scanILN6hipcub18BlockScanAlgorithmE1EEiLj256ELj1ELj100EEvPKT0_PS4_S4_,comdat
	.protected	_Z6kernelI14exclusive_scanILN6hipcub18BlockScanAlgorithmE1EEiLj256ELj1ELj100EEvPKT0_PS4_S4_ ; -- Begin function _Z6kernelI14exclusive_scanILN6hipcub18BlockScanAlgorithmE1EEiLj256ELj1ELj100EEvPKT0_PS4_S4_
	.globl	_Z6kernelI14exclusive_scanILN6hipcub18BlockScanAlgorithmE1EEiLj256ELj1ELj100EEvPKT0_PS4_S4_
	.p2align	8
	.type	_Z6kernelI14exclusive_scanILN6hipcub18BlockScanAlgorithmE1EEiLj256ELj1ELj100EEvPKT0_PS4_S4_,@function
_Z6kernelI14exclusive_scanILN6hipcub18BlockScanAlgorithmE1EEiLj256ELj1ELj100EEvPKT0_PS4_S4_: ; @_Z6kernelI14exclusive_scanILN6hipcub18BlockScanAlgorithmE1EEiLj256ELj1ELj100EEvPKT0_PS4_S4_
; %bb.0:
	s_load_dwordx4 s[4:7], s[0:1], 0x0
	s_load_dword s3, s[0:1], 0x24
	s_load_dword s10, s[0:1], 0x10
	v_mov_b32_e32 v3, 0
	v_lshrrev_b32_e32 v1, 5, v0
	s_waitcnt lgkmcnt(0)
	v_mov_b32_e32 v4, s4
	s_and_b32 s0, s3, 0xffff
	s_mul_i32 s2, s2, s0
	v_mov_b32_e32 v5, s5
	v_add_u32_e32 v2, s2, v0
	v_lshl_add_u64 v[4:5], v[2:3], 2, v[4:5]
	global_load_dword v4, v[4:5], off
	v_add_lshl_u32 v1, v1, v0, 2
	v_cmp_gt_u32_e32 vcc, 64, v0
	v_cmp_eq_u32_e64 s[0:1], 0, v0
	v_cmp_ne_u32_e64 s[2:3], 0, v0
	v_lshlrev_b32_e32 v5, 2, v0
	v_lshrrev_b32_e32 v6, 3, v0
	v_add_u32_e32 v0, -1, v0
	v_add_lshl_u32 v5, v6, v5, 2
	v_lshrrev_b32_e32 v6, 5, v0
	v_add_lshl_u32 v0, v6, v0, 2
	v_mbcnt_lo_u32_b32 v6, -1, 0
	v_mbcnt_hi_u32_b32 v6, -1, v6
	s_movk_i32 s11, 0x64
	v_and_b32_e32 v7, 15, v6
	v_bfe_i32 v8, v6, 4, 1
	v_add_u32_e32 v9, -1, v6
	v_and_b32_e32 v10, 64, v6
	s_branch .LBB132_2
.LBB132_1:                              ;   in Loop: Header=BB132_2 Depth=1
	s_or_b64 exec, exec, s[4:5]
	s_add_i32 s11, s11, -1
	s_cmp_lg_u32 s11, 0
	s_cbranch_scc0 .LBB132_6
.LBB132_2:                              ; =>This Inner Loop Header: Depth=1
	s_waitcnt vmcnt(0)
	ds_write_b32 v1, v4
	s_waitcnt lgkmcnt(0)
	s_barrier
	s_and_saveexec_b64 s[8:9], vcc
	s_cbranch_execz .LBB132_4
; %bb.3:                                ;   in Loop: Header=BB132_2 Depth=1
	ds_read2_b32 v[12:13], v5 offset1:1
	ds_read2_b32 v[14:15], v5 offset0:2 offset1:3
	v_cmp_ne_u32_e64 s[4:5], 0, v7
	s_waitcnt lgkmcnt(1)
	v_add_u32_e32 v11, v13, v12
	s_waitcnt lgkmcnt(0)
	v_add3_u32 v11, v11, v14, v15
	s_nop 1
	v_mov_b32_dpp v16, v11 row_shr:1 row_mask:0xf bank_mask:0xf
	v_cndmask_b32_e64 v16, 0, v16, s[4:5]
	v_add_u32_e32 v11, v16, v11
	v_cmp_lt_u32_e64 s[4:5], 1, v7
	s_nop 0
	v_mov_b32_dpp v16, v11 row_shr:2 row_mask:0xf bank_mask:0xf
	v_cndmask_b32_e64 v16, 0, v16, s[4:5]
	v_add_u32_e32 v11, v11, v16
	v_cmp_lt_u32_e64 s[4:5], 3, v7
	;; [unrolled: 5-line block ×4, first 2 shown]
	s_nop 0
	v_mov_b32_dpp v16, v11 row_bcast:15 row_mask:0xf bank_mask:0xf
	v_and_b32_e32 v16, v8, v16
	v_add_u32_e32 v11, v11, v16
	s_nop 1
	v_mov_b32_dpp v16, v11 row_bcast:31 row_mask:0xf bank_mask:0xf
	v_cndmask_b32_e64 v16, 0, v16, s[4:5]
	v_cmp_lt_i32_e64 s[4:5], v9, v10
	v_add_u32_e32 v11, v11, v16
	s_nop 0
	v_cndmask_b32_e64 v16, v9, v6, s[4:5]
	v_lshlrev_b32_e32 v16, 2, v16
	ds_bpermute_b32 v11, v16, v11
	s_waitcnt lgkmcnt(0)
	v_add_u32_e32 v11, v11, v12
	v_cndmask_b32_e64 v4, v11, v4, s[0:1]
	v_add_u32_e32 v11, v4, v13
	ds_write2_b32 v5, v4, v11 offset1:1
	v_add_u32_e32 v4, v11, v14
	v_add_u32_e32 v11, v4, v15
	ds_write2_b32 v5, v4, v11 offset0:2 offset1:3
.LBB132_4:                              ;   in Loop: Header=BB132_2 Depth=1
	s_or_b64 exec, exec, s[8:9]
	v_mov_b32_e32 v4, s10
	s_waitcnt lgkmcnt(0)
	s_barrier
	s_and_saveexec_b64 s[4:5], s[2:3]
	s_cbranch_execz .LBB132_1
; %bb.5:                                ;   in Loop: Header=BB132_2 Depth=1
	ds_read_b32 v4, v0
	s_waitcnt lgkmcnt(0)
	v_add_u32_e32 v4, s10, v4
	s_branch .LBB132_1
.LBB132_6:
	v_mov_b32_e32 v0, s6
	v_mov_b32_e32 v1, s7
	v_lshl_add_u64 v[0:1], v[2:3], 2, v[0:1]
	global_store_dword v[0:1], v4, off
	s_endpgm
	.section	.rodata,"a",@progbits
	.p2align	6, 0x0
	.amdhsa_kernel _Z6kernelI14exclusive_scanILN6hipcub18BlockScanAlgorithmE1EEiLj256ELj1ELj100EEvPKT0_PS4_S4_
		.amdhsa_group_segment_fixed_size 1056
		.amdhsa_private_segment_fixed_size 0
		.amdhsa_kernarg_size 280
		.amdhsa_user_sgpr_count 2
		.amdhsa_user_sgpr_dispatch_ptr 0
		.amdhsa_user_sgpr_queue_ptr 0
		.amdhsa_user_sgpr_kernarg_segment_ptr 1
		.amdhsa_user_sgpr_dispatch_id 0
		.amdhsa_user_sgpr_kernarg_preload_length 0
		.amdhsa_user_sgpr_kernarg_preload_offset 0
		.amdhsa_user_sgpr_private_segment_size 0
		.amdhsa_uses_dynamic_stack 0
		.amdhsa_enable_private_segment 0
		.amdhsa_system_sgpr_workgroup_id_x 1
		.amdhsa_system_sgpr_workgroup_id_y 0
		.amdhsa_system_sgpr_workgroup_id_z 0
		.amdhsa_system_sgpr_workgroup_info 0
		.amdhsa_system_vgpr_workitem_id 0
		.amdhsa_next_free_vgpr 17
		.amdhsa_next_free_sgpr 12
		.amdhsa_accum_offset 20
		.amdhsa_reserve_vcc 1
		.amdhsa_float_round_mode_32 0
		.amdhsa_float_round_mode_16_64 0
		.amdhsa_float_denorm_mode_32 3
		.amdhsa_float_denorm_mode_16_64 3
		.amdhsa_dx10_clamp 1
		.amdhsa_ieee_mode 1
		.amdhsa_fp16_overflow 0
		.amdhsa_tg_split 0
		.amdhsa_exception_fp_ieee_invalid_op 0
		.amdhsa_exception_fp_denorm_src 0
		.amdhsa_exception_fp_ieee_div_zero 0
		.amdhsa_exception_fp_ieee_overflow 0
		.amdhsa_exception_fp_ieee_underflow 0
		.amdhsa_exception_fp_ieee_inexact 0
		.amdhsa_exception_int_div_zero 0
	.end_amdhsa_kernel
	.section	.text._Z6kernelI14exclusive_scanILN6hipcub18BlockScanAlgorithmE1EEiLj256ELj1ELj100EEvPKT0_PS4_S4_,"axG",@progbits,_Z6kernelI14exclusive_scanILN6hipcub18BlockScanAlgorithmE1EEiLj256ELj1ELj100EEvPKT0_PS4_S4_,comdat
.Lfunc_end132:
	.size	_Z6kernelI14exclusive_scanILN6hipcub18BlockScanAlgorithmE1EEiLj256ELj1ELj100EEvPKT0_PS4_S4_, .Lfunc_end132-_Z6kernelI14exclusive_scanILN6hipcub18BlockScanAlgorithmE1EEiLj256ELj1ELj100EEvPKT0_PS4_S4_
                                        ; -- End function
	.section	.AMDGPU.csdata,"",@progbits
; Kernel info:
; codeLenInByte = 588
; NumSgprs: 18
; NumVgprs: 17
; NumAgprs: 0
; TotalNumVgprs: 17
; ScratchSize: 0
; MemoryBound: 0
; FloatMode: 240
; IeeeMode: 1
; LDSByteSize: 1056 bytes/workgroup (compile time only)
; SGPRBlocks: 2
; VGPRBlocks: 2
; NumSGPRsForWavesPerEU: 18
; NumVGPRsForWavesPerEU: 17
; AccumOffset: 20
; Occupancy: 8
; WaveLimiterHint : 0
; COMPUTE_PGM_RSRC2:SCRATCH_EN: 0
; COMPUTE_PGM_RSRC2:USER_SGPR: 2
; COMPUTE_PGM_RSRC2:TRAP_HANDLER: 0
; COMPUTE_PGM_RSRC2:TGID_X_EN: 1
; COMPUTE_PGM_RSRC2:TGID_Y_EN: 0
; COMPUTE_PGM_RSRC2:TGID_Z_EN: 0
; COMPUTE_PGM_RSRC2:TIDIG_COMP_CNT: 0
; COMPUTE_PGM_RSRC3_GFX90A:ACCUM_OFFSET: 4
; COMPUTE_PGM_RSRC3_GFX90A:TG_SPLIT: 0
	.section	.text._Z6kernelI14exclusive_scanILN6hipcub18BlockScanAlgorithmE1EEiLj256ELj3ELj100EEvPKT0_PS4_S4_,"axG",@progbits,_Z6kernelI14exclusive_scanILN6hipcub18BlockScanAlgorithmE1EEiLj256ELj3ELj100EEvPKT0_PS4_S4_,comdat
	.protected	_Z6kernelI14exclusive_scanILN6hipcub18BlockScanAlgorithmE1EEiLj256ELj3ELj100EEvPKT0_PS4_S4_ ; -- Begin function _Z6kernelI14exclusive_scanILN6hipcub18BlockScanAlgorithmE1EEiLj256ELj3ELj100EEvPKT0_PS4_S4_
	.globl	_Z6kernelI14exclusive_scanILN6hipcub18BlockScanAlgorithmE1EEiLj256ELj3ELj100EEvPKT0_PS4_S4_
	.p2align	8
	.type	_Z6kernelI14exclusive_scanILN6hipcub18BlockScanAlgorithmE1EEiLj256ELj3ELj100EEvPKT0_PS4_S4_,@function
_Z6kernelI14exclusive_scanILN6hipcub18BlockScanAlgorithmE1EEiLj256ELj3ELj100EEvPKT0_PS4_S4_: ; @_Z6kernelI14exclusive_scanILN6hipcub18BlockScanAlgorithmE1EEiLj256ELj3ELj100EEvPKT0_PS4_S4_
; %bb.0:
	s_load_dword s3, s[0:1], 0x24
	s_load_dwordx4 s[4:7], s[0:1], 0x0
	s_load_dword s10, s[0:1], 0x10
	v_mov_b32_e32 v3, 0
	v_mov_b32_e32 v5, v3
	s_waitcnt lgkmcnt(0)
	s_and_b32 s0, s3, 0xffff
	s_mul_i32 s2, s2, s0
	v_add_u32_e32 v1, s2, v0
	v_lshl_add_u32 v2, v1, 1, v1
	v_lshl_add_u64 v[10:11], v[2:3], 2, s[4:5]
	v_add_u32_e32 v4, 1, v2
	v_add_u32_e32 v6, 2, v2
	v_mov_b32_e32 v7, v3
	v_lshl_add_u64 v[12:13], v[4:5], 2, s[4:5]
	v_lshl_add_u64 v[14:15], v[6:7], 2, s[4:5]
	global_load_dword v9, v[10:11], off
	global_load_dword v1, v[12:13], off
	;; [unrolled: 1-line block ×3, first 2 shown]
	v_lshrrev_b32_e32 v8, 5, v0
	v_add_lshl_u32 v8, v8, v0, 2
	v_cmp_gt_u32_e32 vcc, 64, v0
	v_cmp_eq_u32_e64 s[0:1], 0, v0
	v_cmp_ne_u32_e64 s[2:3], 0, v0
	v_lshlrev_b32_e32 v10, 2, v0
	v_lshrrev_b32_e32 v11, 3, v0
	v_add_u32_e32 v0, -1, v0
	v_add_lshl_u32 v10, v11, v10, 2
	v_lshrrev_b32_e32 v11, 5, v0
	v_add_lshl_u32 v0, v11, v0, 2
	v_mbcnt_lo_u32_b32 v11, -1, 0
	v_mbcnt_hi_u32_b32 v11, -1, v11
	s_movk_i32 s11, 0x64
	v_and_b32_e32 v12, 15, v11
	v_bfe_i32 v13, v11, 4, 1
	v_add_u32_e32 v14, -1, v11
	v_and_b32_e32 v15, 64, v11
.LBB133_1:                              ; =>This Inner Loop Header: Depth=1
	s_waitcnt vmcnt(0)
	v_add3_u32 v16, v1, v9, v16
	ds_write_b32 v8, v16
	s_waitcnt lgkmcnt(0)
	s_barrier
	s_and_saveexec_b64 s[8:9], vcc
	s_cbranch_execz .LBB133_3
; %bb.2:                                ;   in Loop: Header=BB133_1 Depth=1
	ds_read2_b32 v[18:19], v10 offset1:1
	ds_read2_b32 v[20:21], v10 offset0:2 offset1:3
	v_cmp_ne_u32_e64 s[4:5], 0, v12
	s_waitcnt lgkmcnt(1)
	v_add_u32_e32 v17, v19, v18
	s_waitcnt lgkmcnt(0)
	v_add3_u32 v17, v17, v20, v21
	s_nop 1
	v_mov_b32_dpp v22, v17 row_shr:1 row_mask:0xf bank_mask:0xf
	v_cndmask_b32_e64 v22, 0, v22, s[4:5]
	v_add_u32_e32 v17, v22, v17
	v_cmp_lt_u32_e64 s[4:5], 1, v12
	s_nop 0
	v_mov_b32_dpp v22, v17 row_shr:2 row_mask:0xf bank_mask:0xf
	v_cndmask_b32_e64 v22, 0, v22, s[4:5]
	v_add_u32_e32 v17, v17, v22
	v_cmp_lt_u32_e64 s[4:5], 3, v12
	;; [unrolled: 5-line block ×4, first 2 shown]
	s_nop 0
	v_mov_b32_dpp v22, v17 row_bcast:15 row_mask:0xf bank_mask:0xf
	v_and_b32_e32 v22, v13, v22
	v_add_u32_e32 v17, v17, v22
	s_nop 1
	v_mov_b32_dpp v22, v17 row_bcast:31 row_mask:0xf bank_mask:0xf
	v_cndmask_b32_e64 v22, 0, v22, s[4:5]
	v_cmp_lt_i32_e64 s[4:5], v14, v15
	v_add_u32_e32 v17, v17, v22
	s_nop 0
	v_cndmask_b32_e64 v22, v14, v11, s[4:5]
	v_lshlrev_b32_e32 v22, 2, v22
	ds_bpermute_b32 v17, v22, v17
	s_waitcnt lgkmcnt(0)
	v_add_u32_e32 v17, v17, v18
	v_cndmask_b32_e64 v16, v17, v16, s[0:1]
	v_add_u32_e32 v17, v16, v19
	ds_write2_b32 v10, v16, v17 offset1:1
	v_add_u32_e32 v16, v17, v20
	v_add_u32_e32 v17, v16, v21
	ds_write2_b32 v10, v16, v17 offset0:2 offset1:3
.LBB133_3:                              ;   in Loop: Header=BB133_1 Depth=1
	s_or_b64 exec, exec, s[8:9]
	v_mov_b32_e32 v17, s10
	s_waitcnt lgkmcnt(0)
	s_barrier
	s_and_saveexec_b64 s[4:5], s[2:3]
	s_cbranch_execz .LBB133_5
; %bb.4:                                ;   in Loop: Header=BB133_1 Depth=1
	ds_read_b32 v16, v0
	s_waitcnt lgkmcnt(0)
	v_add_u32_e32 v17, s10, v16
.LBB133_5:                              ;   in Loop: Header=BB133_1 Depth=1
	s_or_b64 exec, exec, s[4:5]
	v_add_u32_e32 v18, v17, v9
	s_add_i32 s11, s11, -1
	s_cmp_lg_u32 s11, 0
	v_add_u32_e32 v16, v18, v1
	s_cbranch_scc0 .LBB133_7
; %bb.6:                                ;   in Loop: Header=BB133_1 Depth=1
	v_mov_b32_e32 v9, v17
	v_mov_b32_e32 v1, v18
	s_branch .LBB133_1
.LBB133_7:
	v_lshl_add_u64 v[0:1], v[2:3], 2, s[6:7]
	global_store_dword v[0:1], v17, off
	v_lshl_add_u64 v[0:1], v[4:5], 2, s[6:7]
	global_store_dword v[0:1], v18, off
	;; [unrolled: 2-line block ×3, first 2 shown]
	s_endpgm
	.section	.rodata,"a",@progbits
	.p2align	6, 0x0
	.amdhsa_kernel _Z6kernelI14exclusive_scanILN6hipcub18BlockScanAlgorithmE1EEiLj256ELj3ELj100EEvPKT0_PS4_S4_
		.amdhsa_group_segment_fixed_size 1056
		.amdhsa_private_segment_fixed_size 0
		.amdhsa_kernarg_size 280
		.amdhsa_user_sgpr_count 2
		.amdhsa_user_sgpr_dispatch_ptr 0
		.amdhsa_user_sgpr_queue_ptr 0
		.amdhsa_user_sgpr_kernarg_segment_ptr 1
		.amdhsa_user_sgpr_dispatch_id 0
		.amdhsa_user_sgpr_kernarg_preload_length 0
		.amdhsa_user_sgpr_kernarg_preload_offset 0
		.amdhsa_user_sgpr_private_segment_size 0
		.amdhsa_uses_dynamic_stack 0
		.amdhsa_enable_private_segment 0
		.amdhsa_system_sgpr_workgroup_id_x 1
		.amdhsa_system_sgpr_workgroup_id_y 0
		.amdhsa_system_sgpr_workgroup_id_z 0
		.amdhsa_system_sgpr_workgroup_info 0
		.amdhsa_system_vgpr_workitem_id 0
		.amdhsa_next_free_vgpr 23
		.amdhsa_next_free_sgpr 12
		.amdhsa_accum_offset 24
		.amdhsa_reserve_vcc 1
		.amdhsa_float_round_mode_32 0
		.amdhsa_float_round_mode_16_64 0
		.amdhsa_float_denorm_mode_32 3
		.amdhsa_float_denorm_mode_16_64 3
		.amdhsa_dx10_clamp 1
		.amdhsa_ieee_mode 1
		.amdhsa_fp16_overflow 0
		.amdhsa_tg_split 0
		.amdhsa_exception_fp_ieee_invalid_op 0
		.amdhsa_exception_fp_denorm_src 0
		.amdhsa_exception_fp_ieee_div_zero 0
		.amdhsa_exception_fp_ieee_overflow 0
		.amdhsa_exception_fp_ieee_underflow 0
		.amdhsa_exception_fp_ieee_inexact 0
		.amdhsa_exception_int_div_zero 0
	.end_amdhsa_kernel
	.section	.text._Z6kernelI14exclusive_scanILN6hipcub18BlockScanAlgorithmE1EEiLj256ELj3ELj100EEvPKT0_PS4_S4_,"axG",@progbits,_Z6kernelI14exclusive_scanILN6hipcub18BlockScanAlgorithmE1EEiLj256ELj3ELj100EEvPKT0_PS4_S4_,comdat
.Lfunc_end133:
	.size	_Z6kernelI14exclusive_scanILN6hipcub18BlockScanAlgorithmE1EEiLj256ELj3ELj100EEvPKT0_PS4_S4_, .Lfunc_end133-_Z6kernelI14exclusive_scanILN6hipcub18BlockScanAlgorithmE1EEiLj256ELj3ELj100EEvPKT0_PS4_S4_
                                        ; -- End function
	.section	.AMDGPU.csdata,"",@progbits
; Kernel info:
; codeLenInByte = 680
; NumSgprs: 18
; NumVgprs: 23
; NumAgprs: 0
; TotalNumVgprs: 23
; ScratchSize: 0
; MemoryBound: 0
; FloatMode: 240
; IeeeMode: 1
; LDSByteSize: 1056 bytes/workgroup (compile time only)
; SGPRBlocks: 2
; VGPRBlocks: 2
; NumSGPRsForWavesPerEU: 18
; NumVGPRsForWavesPerEU: 23
; AccumOffset: 24
; Occupancy: 8
; WaveLimiterHint : 0
; COMPUTE_PGM_RSRC2:SCRATCH_EN: 0
; COMPUTE_PGM_RSRC2:USER_SGPR: 2
; COMPUTE_PGM_RSRC2:TRAP_HANDLER: 0
; COMPUTE_PGM_RSRC2:TGID_X_EN: 1
; COMPUTE_PGM_RSRC2:TGID_Y_EN: 0
; COMPUTE_PGM_RSRC2:TGID_Z_EN: 0
; COMPUTE_PGM_RSRC2:TIDIG_COMP_CNT: 0
; COMPUTE_PGM_RSRC3_GFX90A:ACCUM_OFFSET: 5
; COMPUTE_PGM_RSRC3_GFX90A:TG_SPLIT: 0
	.section	.text._Z6kernelI14exclusive_scanILN6hipcub18BlockScanAlgorithmE1EEiLj256ELj4ELj100EEvPKT0_PS4_S4_,"axG",@progbits,_Z6kernelI14exclusive_scanILN6hipcub18BlockScanAlgorithmE1EEiLj256ELj4ELj100EEvPKT0_PS4_S4_,comdat
	.protected	_Z6kernelI14exclusive_scanILN6hipcub18BlockScanAlgorithmE1EEiLj256ELj4ELj100EEvPKT0_PS4_S4_ ; -- Begin function _Z6kernelI14exclusive_scanILN6hipcub18BlockScanAlgorithmE1EEiLj256ELj4ELj100EEvPKT0_PS4_S4_
	.globl	_Z6kernelI14exclusive_scanILN6hipcub18BlockScanAlgorithmE1EEiLj256ELj4ELj100EEvPKT0_PS4_S4_
	.p2align	8
	.type	_Z6kernelI14exclusive_scanILN6hipcub18BlockScanAlgorithmE1EEiLj256ELj4ELj100EEvPKT0_PS4_S4_,@function
_Z6kernelI14exclusive_scanILN6hipcub18BlockScanAlgorithmE1EEiLj256ELj4ELj100EEvPKT0_PS4_S4_: ; @_Z6kernelI14exclusive_scanILN6hipcub18BlockScanAlgorithmE1EEiLj256ELj4ELj100EEvPKT0_PS4_S4_
; %bb.0:
	s_load_dwordx4 s[4:7], s[0:1], 0x0
	s_load_dword s3, s[0:1], 0x24
	s_load_dword s10, s[0:1], 0x10
	v_mov_b32_e32 v11, 0
	v_lshrrev_b32_e32 v1, 5, v0
	s_waitcnt lgkmcnt(0)
	v_mov_b32_e32 v2, s4
	s_and_b32 s0, s3, 0xffff
	s_mul_i32 s2, s2, s0
	v_mov_b32_e32 v3, s5
	v_add_lshl_u32 v10, s2, v0, 2
	v_lshl_add_u64 v[2:3], v[10:11], 2, v[2:3]
	global_load_dwordx4 v[2:5], v[2:3], off
	v_add_lshl_u32 v1, v1, v0, 2
	v_cmp_gt_u32_e32 vcc, 64, v0
	v_cmp_eq_u32_e64 s[0:1], 0, v0
	v_cmp_ne_u32_e64 s[2:3], 0, v0
	v_lshlrev_b32_e32 v6, 2, v0
	v_lshrrev_b32_e32 v7, 3, v0
	v_add_u32_e32 v0, -1, v0
	v_add_lshl_u32 v9, v7, v6, 2
	v_lshrrev_b32_e32 v6, 5, v0
	v_add_lshl_u32 v0, v6, v0, 2
	v_mbcnt_lo_u32_b32 v6, -1, 0
	v_mbcnt_hi_u32_b32 v12, -1, v6
	s_movk_i32 s11, 0x64
	v_and_b32_e32 v13, 15, v12
	v_bfe_i32 v14, v12, 4, 1
	v_add_u32_e32 v15, -1, v12
	v_and_b32_e32 v16, 64, v12
.LBB134_1:                              ; =>This Inner Loop Header: Depth=1
	s_waitcnt vmcnt(0)
	v_add_u32_e32 v6, v3, v2
	v_add3_u32 v5, v6, v4, v5
	ds_write_b32 v1, v5
	s_waitcnt lgkmcnt(0)
	s_barrier
	s_and_saveexec_b64 s[8:9], vcc
	s_cbranch_execz .LBB134_3
; %bb.2:                                ;   in Loop: Header=BB134_1 Depth=1
	ds_read2_b32 v[6:7], v9 offset1:1
	ds_read2_b32 v[18:19], v9 offset0:2 offset1:3
	v_cmp_ne_u32_e64 s[4:5], 0, v13
	s_waitcnt lgkmcnt(1)
	v_add_u32_e32 v8, v7, v6
	s_waitcnt lgkmcnt(0)
	v_add3_u32 v8, v8, v18, v19
	s_nop 1
	v_mov_b32_dpp v17, v8 row_shr:1 row_mask:0xf bank_mask:0xf
	v_cndmask_b32_e64 v17, 0, v17, s[4:5]
	v_add_u32_e32 v8, v17, v8
	v_cmp_lt_u32_e64 s[4:5], 1, v13
	s_nop 0
	v_mov_b32_dpp v17, v8 row_shr:2 row_mask:0xf bank_mask:0xf
	v_cndmask_b32_e64 v17, 0, v17, s[4:5]
	v_add_u32_e32 v8, v8, v17
	v_cmp_lt_u32_e64 s[4:5], 3, v13
	;; [unrolled: 5-line block ×4, first 2 shown]
	s_nop 0
	v_mov_b32_dpp v17, v8 row_bcast:15 row_mask:0xf bank_mask:0xf
	v_and_b32_e32 v17, v14, v17
	v_add_u32_e32 v8, v8, v17
	s_nop 1
	v_mov_b32_dpp v17, v8 row_bcast:31 row_mask:0xf bank_mask:0xf
	v_cndmask_b32_e64 v17, 0, v17, s[4:5]
	v_cmp_lt_i32_e64 s[4:5], v15, v16
	v_add_u32_e32 v8, v8, v17
	s_nop 0
	v_cndmask_b32_e64 v17, v15, v12, s[4:5]
	v_lshlrev_b32_e32 v17, 2, v17
	ds_bpermute_b32 v8, v17, v8
	s_waitcnt lgkmcnt(0)
	v_add_u32_e32 v6, v8, v6
	v_cndmask_b32_e64 v5, v6, v5, s[0:1]
	v_add_u32_e32 v6, v5, v7
	ds_write2_b32 v9, v5, v6 offset1:1
	v_add_u32_e32 v5, v6, v18
	v_add_u32_e32 v6, v5, v19
	ds_write2_b32 v9, v5, v6 offset0:2 offset1:3
.LBB134_3:                              ;   in Loop: Header=BB134_1 Depth=1
	s_or_b64 exec, exec, s[8:9]
	v_mov_b32_e32 v6, s10
	s_waitcnt lgkmcnt(0)
	s_barrier
	s_and_saveexec_b64 s[4:5], s[2:3]
	s_cbranch_execz .LBB134_5
; %bb.4:                                ;   in Loop: Header=BB134_1 Depth=1
	ds_read_b32 v5, v0
	s_waitcnt lgkmcnt(0)
	v_add_u32_e32 v6, s10, v5
.LBB134_5:                              ;   in Loop: Header=BB134_1 Depth=1
	s_or_b64 exec, exec, s[4:5]
	v_add_u32_e32 v7, v6, v2
	v_add_u32_e32 v8, v7, v3
	s_add_i32 s11, s11, -1
	s_cmp_lg_u32 s11, 0
	v_add_u32_e32 v5, v8, v4
	s_cbranch_scc0 .LBB134_7
; %bb.6:                                ;   in Loop: Header=BB134_1 Depth=1
	v_mov_b32_e32 v2, v6
	v_mov_b32_e32 v3, v7
	;; [unrolled: 1-line block ×3, first 2 shown]
	s_branch .LBB134_1
.LBB134_7:
	v_mov_b32_e32 v0, s6
	v_mov_b32_e32 v1, s7
	v_lshl_add_u64 v[0:1], v[10:11], 2, v[0:1]
	v_mov_b32_e32 v9, v5
	global_store_dwordx4 v[0:1], v[6:9], off
	s_endpgm
	.section	.rodata,"a",@progbits
	.p2align	6, 0x0
	.amdhsa_kernel _Z6kernelI14exclusive_scanILN6hipcub18BlockScanAlgorithmE1EEiLj256ELj4ELj100EEvPKT0_PS4_S4_
		.amdhsa_group_segment_fixed_size 1056
		.amdhsa_private_segment_fixed_size 0
		.amdhsa_kernarg_size 280
		.amdhsa_user_sgpr_count 2
		.amdhsa_user_sgpr_dispatch_ptr 0
		.amdhsa_user_sgpr_queue_ptr 0
		.amdhsa_user_sgpr_kernarg_segment_ptr 1
		.amdhsa_user_sgpr_dispatch_id 0
		.amdhsa_user_sgpr_kernarg_preload_length 0
		.amdhsa_user_sgpr_kernarg_preload_offset 0
		.amdhsa_user_sgpr_private_segment_size 0
		.amdhsa_uses_dynamic_stack 0
		.amdhsa_enable_private_segment 0
		.amdhsa_system_sgpr_workgroup_id_x 1
		.amdhsa_system_sgpr_workgroup_id_y 0
		.amdhsa_system_sgpr_workgroup_id_z 0
		.amdhsa_system_sgpr_workgroup_info 0
		.amdhsa_system_vgpr_workitem_id 0
		.amdhsa_next_free_vgpr 20
		.amdhsa_next_free_sgpr 12
		.amdhsa_accum_offset 20
		.amdhsa_reserve_vcc 1
		.amdhsa_float_round_mode_32 0
		.amdhsa_float_round_mode_16_64 0
		.amdhsa_float_denorm_mode_32 3
		.amdhsa_float_denorm_mode_16_64 3
		.amdhsa_dx10_clamp 1
		.amdhsa_ieee_mode 1
		.amdhsa_fp16_overflow 0
		.amdhsa_tg_split 0
		.amdhsa_exception_fp_ieee_invalid_op 0
		.amdhsa_exception_fp_denorm_src 0
		.amdhsa_exception_fp_ieee_div_zero 0
		.amdhsa_exception_fp_ieee_overflow 0
		.amdhsa_exception_fp_ieee_underflow 0
		.amdhsa_exception_fp_ieee_inexact 0
		.amdhsa_exception_int_div_zero 0
	.end_amdhsa_kernel
	.section	.text._Z6kernelI14exclusive_scanILN6hipcub18BlockScanAlgorithmE1EEiLj256ELj4ELj100EEvPKT0_PS4_S4_,"axG",@progbits,_Z6kernelI14exclusive_scanILN6hipcub18BlockScanAlgorithmE1EEiLj256ELj4ELj100EEvPKT0_PS4_S4_,comdat
.Lfunc_end134:
	.size	_Z6kernelI14exclusive_scanILN6hipcub18BlockScanAlgorithmE1EEiLj256ELj4ELj100EEvPKT0_PS4_S4_, .Lfunc_end134-_Z6kernelI14exclusive_scanILN6hipcub18BlockScanAlgorithmE1EEiLj256ELj4ELj100EEvPKT0_PS4_S4_
                                        ; -- End function
	.section	.AMDGPU.csdata,"",@progbits
; Kernel info:
; codeLenInByte = 628
; NumSgprs: 18
; NumVgprs: 20
; NumAgprs: 0
; TotalNumVgprs: 20
; ScratchSize: 0
; MemoryBound: 0
; FloatMode: 240
; IeeeMode: 1
; LDSByteSize: 1056 bytes/workgroup (compile time only)
; SGPRBlocks: 2
; VGPRBlocks: 2
; NumSGPRsForWavesPerEU: 18
; NumVGPRsForWavesPerEU: 20
; AccumOffset: 20
; Occupancy: 8
; WaveLimiterHint : 0
; COMPUTE_PGM_RSRC2:SCRATCH_EN: 0
; COMPUTE_PGM_RSRC2:USER_SGPR: 2
; COMPUTE_PGM_RSRC2:TRAP_HANDLER: 0
; COMPUTE_PGM_RSRC2:TGID_X_EN: 1
; COMPUTE_PGM_RSRC2:TGID_Y_EN: 0
; COMPUTE_PGM_RSRC2:TGID_Z_EN: 0
; COMPUTE_PGM_RSRC2:TIDIG_COMP_CNT: 0
; COMPUTE_PGM_RSRC3_GFX90A:ACCUM_OFFSET: 4
; COMPUTE_PGM_RSRC3_GFX90A:TG_SPLIT: 0
	.section	.text._Z6kernelI14exclusive_scanILN6hipcub18BlockScanAlgorithmE1EEiLj256ELj8ELj100EEvPKT0_PS4_S4_,"axG",@progbits,_Z6kernelI14exclusive_scanILN6hipcub18BlockScanAlgorithmE1EEiLj256ELj8ELj100EEvPKT0_PS4_S4_,comdat
	.protected	_Z6kernelI14exclusive_scanILN6hipcub18BlockScanAlgorithmE1EEiLj256ELj8ELj100EEvPKT0_PS4_S4_ ; -- Begin function _Z6kernelI14exclusive_scanILN6hipcub18BlockScanAlgorithmE1EEiLj256ELj8ELj100EEvPKT0_PS4_S4_
	.globl	_Z6kernelI14exclusive_scanILN6hipcub18BlockScanAlgorithmE1EEiLj256ELj8ELj100EEvPKT0_PS4_S4_
	.p2align	8
	.type	_Z6kernelI14exclusive_scanILN6hipcub18BlockScanAlgorithmE1EEiLj256ELj8ELj100EEvPKT0_PS4_S4_,@function
_Z6kernelI14exclusive_scanILN6hipcub18BlockScanAlgorithmE1EEiLj256ELj8ELj100EEvPKT0_PS4_S4_: ; @_Z6kernelI14exclusive_scanILN6hipcub18BlockScanAlgorithmE1EEiLj256ELj8ELj100EEvPKT0_PS4_S4_
; %bb.0:
	s_load_dwordx4 s[4:7], s[0:1], 0x0
	s_load_dword s3, s[0:1], 0x24
	s_load_dword s10, s[0:1], 0x10
	v_mov_b32_e32 v19, 0
	v_lshrrev_b32_e32 v1, 5, v0
	s_waitcnt lgkmcnt(0)
	v_mov_b32_e32 v2, s4
	s_and_b32 s0, s3, 0xffff
	s_mul_i32 s2, s2, s0
	v_mov_b32_e32 v3, s5
	v_add_lshl_u32 v18, s2, v0, 3
	v_lshl_add_u64 v[10:11], v[18:19], 2, v[2:3]
	global_load_dwordx4 v[6:9], v[10:11], off
	global_load_dwordx4 v[2:5], v[10:11], off offset:16
	v_add_lshl_u32 v1, v1, v0, 2
	v_cmp_gt_u32_e32 vcc, 64, v0
	v_cmp_eq_u32_e64 s[0:1], 0, v0
	v_cmp_ne_u32_e64 s[2:3], 0, v0
	v_lshlrev_b32_e32 v10, 2, v0
	v_lshrrev_b32_e32 v11, 3, v0
	v_add_u32_e32 v0, -1, v0
	v_add_lshl_u32 v17, v11, v10, 2
	v_lshrrev_b32_e32 v10, 5, v0
	v_add_lshl_u32 v0, v10, v0, 2
	v_mbcnt_lo_u32_b32 v10, -1, 0
	v_mbcnt_hi_u32_b32 v20, -1, v10
	s_movk_i32 s11, 0x64
	v_and_b32_e32 v21, 15, v20
	v_bfe_i32 v22, v20, 4, 1
	v_add_u32_e32 v23, -1, v20
	v_and_b32_e32 v24, 64, v20
.LBB135_1:                              ; =>This Inner Loop Header: Depth=1
	s_waitcnt vmcnt(1)
	v_add_u32_e32 v10, v7, v6
	v_add3_u32 v10, v10, v8, v9
	s_waitcnt vmcnt(0)
	v_add3_u32 v10, v10, v2, v3
	v_add3_u32 v5, v10, v4, v5
	ds_write_b32 v1, v5
	s_waitcnt lgkmcnt(0)
	s_barrier
	s_and_saveexec_b64 s[8:9], vcc
	s_cbranch_execz .LBB135_3
; %bb.2:                                ;   in Loop: Header=BB135_1 Depth=1
	ds_read2_b32 v[10:11], v17 offset1:1
	ds_read2_b32 v[12:13], v17 offset0:2 offset1:3
	v_cmp_ne_u32_e64 s[4:5], 0, v21
	s_waitcnt lgkmcnt(1)
	v_add_u32_e32 v14, v11, v10
	s_waitcnt lgkmcnt(0)
	v_add3_u32 v14, v14, v12, v13
	s_nop 1
	v_mov_b32_dpp v15, v14 row_shr:1 row_mask:0xf bank_mask:0xf
	v_cndmask_b32_e64 v15, 0, v15, s[4:5]
	v_add_u32_e32 v14, v15, v14
	v_cmp_lt_u32_e64 s[4:5], 1, v21
	s_nop 0
	v_mov_b32_dpp v15, v14 row_shr:2 row_mask:0xf bank_mask:0xf
	v_cndmask_b32_e64 v15, 0, v15, s[4:5]
	v_add_u32_e32 v14, v14, v15
	v_cmp_lt_u32_e64 s[4:5], 3, v21
	;; [unrolled: 5-line block ×4, first 2 shown]
	s_nop 0
	v_mov_b32_dpp v15, v14 row_bcast:15 row_mask:0xf bank_mask:0xf
	v_and_b32_e32 v15, v22, v15
	v_add_u32_e32 v14, v14, v15
	s_nop 1
	v_mov_b32_dpp v15, v14 row_bcast:31 row_mask:0xf bank_mask:0xf
	v_cndmask_b32_e64 v15, 0, v15, s[4:5]
	v_cmp_lt_i32_e64 s[4:5], v23, v24
	v_add_u32_e32 v14, v14, v15
	s_nop 0
	v_cndmask_b32_e64 v15, v23, v20, s[4:5]
	v_lshlrev_b32_e32 v15, 2, v15
	ds_bpermute_b32 v14, v15, v14
	s_waitcnt lgkmcnt(0)
	v_add_u32_e32 v10, v14, v10
	v_cndmask_b32_e64 v5, v10, v5, s[0:1]
	v_add_u32_e32 v10, v5, v11
	ds_write2_b32 v17, v5, v10 offset1:1
	v_add_u32_e32 v5, v10, v12
	v_add_u32_e32 v10, v5, v13
	ds_write2_b32 v17, v5, v10 offset0:2 offset1:3
.LBB135_3:                              ;   in Loop: Header=BB135_1 Depth=1
	s_or_b64 exec, exec, s[8:9]
	v_mov_b32_e32 v14, s10
	s_waitcnt lgkmcnt(0)
	s_barrier
	s_and_saveexec_b64 s[4:5], s[2:3]
	s_cbranch_execz .LBB135_5
; %bb.4:                                ;   in Loop: Header=BB135_1 Depth=1
	ds_read_b32 v5, v0
	s_waitcnt lgkmcnt(0)
	v_add_u32_e32 v14, s10, v5
.LBB135_5:                              ;   in Loop: Header=BB135_1 Depth=1
	s_or_b64 exec, exec, s[4:5]
	v_add_u32_e32 v15, v14, v6
	v_add_u32_e32 v16, v15, v7
	;; [unrolled: 1-line block ×6, first 2 shown]
	s_add_i32 s11, s11, -1
	s_cmp_lg_u32 s11, 0
	v_add_u32_e32 v5, v13, v4
	s_cbranch_scc0 .LBB135_7
; %bb.6:                                ;   in Loop: Header=BB135_1 Depth=1
	v_mov_b32_e32 v6, v14
	v_mov_b32_e32 v7, v15
	;; [unrolled: 1-line block ×7, first 2 shown]
	s_branch .LBB135_1
.LBB135_7:
	v_mov_b32_e32 v0, s6
	v_mov_b32_e32 v1, s7
	v_lshl_add_u64 v[0:1], v[18:19], 2, v[0:1]
	global_store_dwordx3 v[0:1], v[14:16], off
	global_store_dwordx4 v[0:1], v[10:13], off offset:12
	global_store_dword v[0:1], v5, off offset:28
	s_endpgm
	.section	.rodata,"a",@progbits
	.p2align	6, 0x0
	.amdhsa_kernel _Z6kernelI14exclusive_scanILN6hipcub18BlockScanAlgorithmE1EEiLj256ELj8ELj100EEvPKT0_PS4_S4_
		.amdhsa_group_segment_fixed_size 1056
		.amdhsa_private_segment_fixed_size 0
		.amdhsa_kernarg_size 280
		.amdhsa_user_sgpr_count 2
		.amdhsa_user_sgpr_dispatch_ptr 0
		.amdhsa_user_sgpr_queue_ptr 0
		.amdhsa_user_sgpr_kernarg_segment_ptr 1
		.amdhsa_user_sgpr_dispatch_id 0
		.amdhsa_user_sgpr_kernarg_preload_length 0
		.amdhsa_user_sgpr_kernarg_preload_offset 0
		.amdhsa_user_sgpr_private_segment_size 0
		.amdhsa_uses_dynamic_stack 0
		.amdhsa_enable_private_segment 0
		.amdhsa_system_sgpr_workgroup_id_x 1
		.amdhsa_system_sgpr_workgroup_id_y 0
		.amdhsa_system_sgpr_workgroup_id_z 0
		.amdhsa_system_sgpr_workgroup_info 0
		.amdhsa_system_vgpr_workitem_id 0
		.amdhsa_next_free_vgpr 25
		.amdhsa_next_free_sgpr 12
		.amdhsa_accum_offset 28
		.amdhsa_reserve_vcc 1
		.amdhsa_float_round_mode_32 0
		.amdhsa_float_round_mode_16_64 0
		.amdhsa_float_denorm_mode_32 3
		.amdhsa_float_denorm_mode_16_64 3
		.amdhsa_dx10_clamp 1
		.amdhsa_ieee_mode 1
		.amdhsa_fp16_overflow 0
		.amdhsa_tg_split 0
		.amdhsa_exception_fp_ieee_invalid_op 0
		.amdhsa_exception_fp_denorm_src 0
		.amdhsa_exception_fp_ieee_div_zero 0
		.amdhsa_exception_fp_ieee_overflow 0
		.amdhsa_exception_fp_ieee_underflow 0
		.amdhsa_exception_fp_ieee_inexact 0
		.amdhsa_exception_int_div_zero 0
	.end_amdhsa_kernel
	.section	.text._Z6kernelI14exclusive_scanILN6hipcub18BlockScanAlgorithmE1EEiLj256ELj8ELj100EEvPKT0_PS4_S4_,"axG",@progbits,_Z6kernelI14exclusive_scanILN6hipcub18BlockScanAlgorithmE1EEiLj256ELj8ELj100EEvPKT0_PS4_S4_,comdat
.Lfunc_end135:
	.size	_Z6kernelI14exclusive_scanILN6hipcub18BlockScanAlgorithmE1EEiLj256ELj8ELj100EEvPKT0_PS4_S4_, .Lfunc_end135-_Z6kernelI14exclusive_scanILN6hipcub18BlockScanAlgorithmE1EEiLj256ELj8ELj100EEvPKT0_PS4_S4_
                                        ; -- End function
	.section	.AMDGPU.csdata,"",@progbits
; Kernel info:
; codeLenInByte = 700
; NumSgprs: 18
; NumVgprs: 25
; NumAgprs: 0
; TotalNumVgprs: 25
; ScratchSize: 0
; MemoryBound: 0
; FloatMode: 240
; IeeeMode: 1
; LDSByteSize: 1056 bytes/workgroup (compile time only)
; SGPRBlocks: 2
; VGPRBlocks: 3
; NumSGPRsForWavesPerEU: 18
; NumVGPRsForWavesPerEU: 25
; AccumOffset: 28
; Occupancy: 8
; WaveLimiterHint : 0
; COMPUTE_PGM_RSRC2:SCRATCH_EN: 0
; COMPUTE_PGM_RSRC2:USER_SGPR: 2
; COMPUTE_PGM_RSRC2:TRAP_HANDLER: 0
; COMPUTE_PGM_RSRC2:TGID_X_EN: 1
; COMPUTE_PGM_RSRC2:TGID_Y_EN: 0
; COMPUTE_PGM_RSRC2:TGID_Z_EN: 0
; COMPUTE_PGM_RSRC2:TIDIG_COMP_CNT: 0
; COMPUTE_PGM_RSRC3_GFX90A:ACCUM_OFFSET: 6
; COMPUTE_PGM_RSRC3_GFX90A:TG_SPLIT: 0
	.section	.text._Z6kernelI14exclusive_scanILN6hipcub18BlockScanAlgorithmE1EEiLj256ELj11ELj100EEvPKT0_PS4_S4_,"axG",@progbits,_Z6kernelI14exclusive_scanILN6hipcub18BlockScanAlgorithmE1EEiLj256ELj11ELj100EEvPKT0_PS4_S4_,comdat
	.protected	_Z6kernelI14exclusive_scanILN6hipcub18BlockScanAlgorithmE1EEiLj256ELj11ELj100EEvPKT0_PS4_S4_ ; -- Begin function _Z6kernelI14exclusive_scanILN6hipcub18BlockScanAlgorithmE1EEiLj256ELj11ELj100EEvPKT0_PS4_S4_
	.globl	_Z6kernelI14exclusive_scanILN6hipcub18BlockScanAlgorithmE1EEiLj256ELj11ELj100EEvPKT0_PS4_S4_
	.p2align	8
	.type	_Z6kernelI14exclusive_scanILN6hipcub18BlockScanAlgorithmE1EEiLj256ELj11ELj100EEvPKT0_PS4_S4_,@function
_Z6kernelI14exclusive_scanILN6hipcub18BlockScanAlgorithmE1EEiLj256ELj11ELj100EEvPKT0_PS4_S4_: ; @_Z6kernelI14exclusive_scanILN6hipcub18BlockScanAlgorithmE1EEiLj256ELj11ELj100EEvPKT0_PS4_S4_
; %bb.0:
	s_load_dword s3, s[0:1], 0x24
	s_load_dwordx4 s[4:7], s[0:1], 0x0
	s_load_dword s10, s[0:1], 0x10
	v_mov_b32_e32 v3, 0
	v_mov_b32_e32 v5, v3
	s_waitcnt lgkmcnt(0)
	s_and_b32 s0, s3, 0xffff
	s_mul_i32 s2, s2, s0
	v_add_u32_e32 v1, s2, v0
	v_mul_lo_u32 v2, v1, 11
	v_lshl_add_u64 v[18:19], v[2:3], 2, s[4:5]
	v_add_u32_e32 v4, 1, v2
	v_add_u32_e32 v6, 2, v2
	v_mov_b32_e32 v7, v3
	v_add_u32_e32 v8, 3, v2
	v_mov_b32_e32 v9, v3
	;; [unrolled: 2-line block ×6, first 2 shown]
	v_lshl_add_u64 v[20:21], v[4:5], 2, s[4:5]
	v_lshl_add_u64 v[22:23], v[6:7], 2, s[4:5]
	v_lshl_add_u64 v[32:33], v[8:9], 2, s[4:5]
	v_lshl_add_u64 v[34:35], v[10:11], 2, s[4:5]
	v_lshl_add_u64 v[36:37], v[12:13], 2, s[4:5]
	v_lshl_add_u64 v[38:39], v[14:15], 2, s[4:5]
	v_lshl_add_u64 v[40:41], v[16:17], 2, s[4:5]
	global_load_dword v30, v[18:19], off
	global_load_dword v29, v[20:21], off
	;; [unrolled: 1-line block ×8, first 2 shown]
	v_add_u32_e32 v18, 8, v2
	v_mov_b32_e32 v19, v3
	v_lshl_add_u64 v[34:35], v[18:19], 2, s[4:5]
	v_add_u32_e32 v20, 9, v2
	v_mov_b32_e32 v21, v3
	v_add_u32_e32 v22, 10, v2
	v_mov_b32_e32 v23, v3
	v_lshl_add_u64 v[36:37], v[20:21], 2, s[4:5]
	v_lshl_add_u64 v[38:39], v[22:23], 2, s[4:5]
	global_load_dword v33, v[34:35], off
	global_load_dword v31, v[36:37], off
	global_load_dword v40, v[38:39], off
	v_lshrrev_b32_e32 v32, 5, v0
	v_add_lshl_u32 v32, v32, v0, 2
	v_cmp_gt_u32_e32 vcc, 64, v0
	v_cmp_eq_u32_e64 s[0:1], 0, v0
	v_cmp_ne_u32_e64 s[2:3], 0, v0
	v_lshlrev_b32_e32 v34, 2, v0
	v_lshrrev_b32_e32 v35, 3, v0
	v_add_u32_e32 v0, -1, v0
	v_add_lshl_u32 v34, v35, v34, 2
	v_lshrrev_b32_e32 v35, 5, v0
	v_add_lshl_u32 v0, v35, v0, 2
	v_mbcnt_lo_u32_b32 v35, -1, 0
	v_mbcnt_hi_u32_b32 v35, -1, v35
	s_movk_i32 s11, 0x64
	v_and_b32_e32 v36, 15, v35
	v_bfe_i32 v37, v35, 4, 1
	v_add_u32_e32 v38, -1, v35
	v_and_b32_e32 v39, 64, v35
.LBB136_1:                              ; =>This Inner Loop Header: Depth=1
	s_waitcnt vmcnt(0)
	v_add3_u32 v40, v31, v40, v33
	v_add3_u32 v40, v40, v1, v24
	;; [unrolled: 1-line block ×5, first 2 shown]
	ds_write_b32 v32, v40
	s_waitcnt lgkmcnt(0)
	s_barrier
	s_and_saveexec_b64 s[8:9], vcc
	s_cbranch_execz .LBB136_3
; %bb.2:                                ;   in Loop: Header=BB136_1 Depth=1
	ds_read2_b32 v[42:43], v34 offset1:1
	ds_read2_b32 v[44:45], v34 offset0:2 offset1:3
	v_cmp_ne_u32_e64 s[4:5], 0, v36
	s_waitcnt lgkmcnt(1)
	v_add_u32_e32 v41, v43, v42
	s_waitcnt lgkmcnt(0)
	v_add3_u32 v41, v41, v44, v45
	s_nop 1
	v_mov_b32_dpp v46, v41 row_shr:1 row_mask:0xf bank_mask:0xf
	v_cndmask_b32_e64 v46, 0, v46, s[4:5]
	v_add_u32_e32 v41, v46, v41
	v_cmp_lt_u32_e64 s[4:5], 1, v36
	s_nop 0
	v_mov_b32_dpp v46, v41 row_shr:2 row_mask:0xf bank_mask:0xf
	v_cndmask_b32_e64 v46, 0, v46, s[4:5]
	v_add_u32_e32 v41, v41, v46
	v_cmp_lt_u32_e64 s[4:5], 3, v36
	;; [unrolled: 5-line block ×4, first 2 shown]
	s_nop 0
	v_mov_b32_dpp v46, v41 row_bcast:15 row_mask:0xf bank_mask:0xf
	v_and_b32_e32 v46, v37, v46
	v_add_u32_e32 v41, v41, v46
	s_nop 1
	v_mov_b32_dpp v46, v41 row_bcast:31 row_mask:0xf bank_mask:0xf
	v_cndmask_b32_e64 v46, 0, v46, s[4:5]
	v_cmp_lt_i32_e64 s[4:5], v38, v39
	v_add_u32_e32 v41, v41, v46
	s_nop 0
	v_cndmask_b32_e64 v46, v38, v35, s[4:5]
	v_lshlrev_b32_e32 v46, 2, v46
	ds_bpermute_b32 v41, v46, v41
	s_waitcnt lgkmcnt(0)
	v_add_u32_e32 v41, v41, v42
	v_cndmask_b32_e64 v40, v41, v40, s[0:1]
	v_add_u32_e32 v41, v40, v43
	ds_write2_b32 v34, v40, v41 offset1:1
	v_add_u32_e32 v40, v41, v44
	v_add_u32_e32 v41, v40, v45
	ds_write2_b32 v34, v40, v41 offset0:2 offset1:3
.LBB136_3:                              ;   in Loop: Header=BB136_1 Depth=1
	s_or_b64 exec, exec, s[8:9]
	v_mov_b32_e32 v41, s10
	s_waitcnt lgkmcnt(0)
	s_barrier
	s_and_saveexec_b64 s[4:5], s[2:3]
	s_cbranch_execz .LBB136_5
; %bb.4:                                ;   in Loop: Header=BB136_1 Depth=1
	ds_read_b32 v40, v0
	s_waitcnt lgkmcnt(0)
	v_add_u32_e32 v41, s10, v40
.LBB136_5:                              ;   in Loop: Header=BB136_1 Depth=1
	s_or_b64 exec, exec, s[4:5]
	v_add_u32_e32 v30, v41, v30
	v_add_u32_e32 v29, v30, v29
	;; [unrolled: 1-line block ×9, first 2 shown]
	s_add_i32 s11, s11, -1
	s_cmp_lg_u32 s11, 0
	v_add_u32_e32 v40, v33, v31
	s_cbranch_scc0 .LBB136_7
; %bb.6:                                ;   in Loop: Header=BB136_1 Depth=1
	v_mov_b32_e32 v31, v33
	v_mov_b32_e32 v33, v1
	;; [unrolled: 1-line block ×10, first 2 shown]
	s_branch .LBB136_1
.LBB136_7:
	v_lshl_add_u64 v[2:3], v[2:3], 2, s[6:7]
	global_store_dword v[2:3], v41, off
	v_lshl_add_u64 v[2:3], v[4:5], 2, s[6:7]
	global_store_dword v[2:3], v30, off
	;; [unrolled: 2-line block ×11, first 2 shown]
	s_endpgm
	.section	.rodata,"a",@progbits
	.p2align	6, 0x0
	.amdhsa_kernel _Z6kernelI14exclusive_scanILN6hipcub18BlockScanAlgorithmE1EEiLj256ELj11ELj100EEvPKT0_PS4_S4_
		.amdhsa_group_segment_fixed_size 1056
		.amdhsa_private_segment_fixed_size 0
		.amdhsa_kernarg_size 280
		.amdhsa_user_sgpr_count 2
		.amdhsa_user_sgpr_dispatch_ptr 0
		.amdhsa_user_sgpr_queue_ptr 0
		.amdhsa_user_sgpr_kernarg_segment_ptr 1
		.amdhsa_user_sgpr_dispatch_id 0
		.amdhsa_user_sgpr_kernarg_preload_length 0
		.amdhsa_user_sgpr_kernarg_preload_offset 0
		.amdhsa_user_sgpr_private_segment_size 0
		.amdhsa_uses_dynamic_stack 0
		.amdhsa_enable_private_segment 0
		.amdhsa_system_sgpr_workgroup_id_x 1
		.amdhsa_system_sgpr_workgroup_id_y 0
		.amdhsa_system_sgpr_workgroup_id_z 0
		.amdhsa_system_sgpr_workgroup_info 0
		.amdhsa_system_vgpr_workitem_id 0
		.amdhsa_next_free_vgpr 47
		.amdhsa_next_free_sgpr 12
		.amdhsa_accum_offset 48
		.amdhsa_reserve_vcc 1
		.amdhsa_float_round_mode_32 0
		.amdhsa_float_round_mode_16_64 0
		.amdhsa_float_denorm_mode_32 3
		.amdhsa_float_denorm_mode_16_64 3
		.amdhsa_dx10_clamp 1
		.amdhsa_ieee_mode 1
		.amdhsa_fp16_overflow 0
		.amdhsa_tg_split 0
		.amdhsa_exception_fp_ieee_invalid_op 0
		.amdhsa_exception_fp_denorm_src 0
		.amdhsa_exception_fp_ieee_div_zero 0
		.amdhsa_exception_fp_ieee_overflow 0
		.amdhsa_exception_fp_ieee_underflow 0
		.amdhsa_exception_fp_ieee_inexact 0
		.amdhsa_exception_int_div_zero 0
	.end_amdhsa_kernel
	.section	.text._Z6kernelI14exclusive_scanILN6hipcub18BlockScanAlgorithmE1EEiLj256ELj11ELj100EEvPKT0_PS4_S4_,"axG",@progbits,_Z6kernelI14exclusive_scanILN6hipcub18BlockScanAlgorithmE1EEiLj256ELj11ELj100EEvPKT0_PS4_S4_,comdat
.Lfunc_end136:
	.size	_Z6kernelI14exclusive_scanILN6hipcub18BlockScanAlgorithmE1EEiLj256ELj11ELj100EEvPKT0_PS4_S4_, .Lfunc_end136-_Z6kernelI14exclusive_scanILN6hipcub18BlockScanAlgorithmE1EEiLj256ELj11ELj100EEvPKT0_PS4_S4_
                                        ; -- End function
	.section	.AMDGPU.csdata,"",@progbits
; Kernel info:
; codeLenInByte = 1096
; NumSgprs: 18
; NumVgprs: 47
; NumAgprs: 0
; TotalNumVgprs: 47
; ScratchSize: 0
; MemoryBound: 0
; FloatMode: 240
; IeeeMode: 1
; LDSByteSize: 1056 bytes/workgroup (compile time only)
; SGPRBlocks: 2
; VGPRBlocks: 5
; NumSGPRsForWavesPerEU: 18
; NumVGPRsForWavesPerEU: 47
; AccumOffset: 48
; Occupancy: 8
; WaveLimiterHint : 0
; COMPUTE_PGM_RSRC2:SCRATCH_EN: 0
; COMPUTE_PGM_RSRC2:USER_SGPR: 2
; COMPUTE_PGM_RSRC2:TRAP_HANDLER: 0
; COMPUTE_PGM_RSRC2:TGID_X_EN: 1
; COMPUTE_PGM_RSRC2:TGID_Y_EN: 0
; COMPUTE_PGM_RSRC2:TGID_Z_EN: 0
; COMPUTE_PGM_RSRC2:TIDIG_COMP_CNT: 0
; COMPUTE_PGM_RSRC3_GFX90A:ACCUM_OFFSET: 11
; COMPUTE_PGM_RSRC3_GFX90A:TG_SPLIT: 0
	.section	.text._Z6kernelI14exclusive_scanILN6hipcub18BlockScanAlgorithmE1EEiLj256ELj16ELj100EEvPKT0_PS4_S4_,"axG",@progbits,_Z6kernelI14exclusive_scanILN6hipcub18BlockScanAlgorithmE1EEiLj256ELj16ELj100EEvPKT0_PS4_S4_,comdat
	.protected	_Z6kernelI14exclusive_scanILN6hipcub18BlockScanAlgorithmE1EEiLj256ELj16ELj100EEvPKT0_PS4_S4_ ; -- Begin function _Z6kernelI14exclusive_scanILN6hipcub18BlockScanAlgorithmE1EEiLj256ELj16ELj100EEvPKT0_PS4_S4_
	.globl	_Z6kernelI14exclusive_scanILN6hipcub18BlockScanAlgorithmE1EEiLj256ELj16ELj100EEvPKT0_PS4_S4_
	.p2align	8
	.type	_Z6kernelI14exclusive_scanILN6hipcub18BlockScanAlgorithmE1EEiLj256ELj16ELj100EEvPKT0_PS4_S4_,@function
_Z6kernelI14exclusive_scanILN6hipcub18BlockScanAlgorithmE1EEiLj256ELj16ELj100EEvPKT0_PS4_S4_: ; @_Z6kernelI14exclusive_scanILN6hipcub18BlockScanAlgorithmE1EEiLj256ELj16ELj100EEvPKT0_PS4_S4_
; %bb.0:
	s_load_dwordx4 s[4:7], s[0:1], 0x0
	s_load_dword s3, s[0:1], 0x24
	s_load_dword s10, s[0:1], 0x10
	v_mov_b32_e32 v27, 0
	v_lshrrev_b32_e32 v1, 5, v0
	s_waitcnt lgkmcnt(0)
	v_mov_b32_e32 v2, s4
	s_and_b32 s0, s3, 0xffff
	s_mul_i32 s2, s2, s0
	v_mov_b32_e32 v3, s5
	v_add_lshl_u32 v26, s2, v0, 4
	v_lshl_add_u64 v[18:19], v[26:27], 2, v[2:3]
	global_load_dwordx4 v[2:5], v[18:19], off offset:48
	global_load_dwordx4 v[6:9], v[18:19], off offset:32
	global_load_dwordx4 v[10:13], v[18:19], off
	global_load_dwordx4 v[14:17], v[18:19], off offset:16
	v_add_lshl_u32 v28, v1, v0, 2
	v_cmp_gt_u32_e32 vcc, 64, v0
	v_cmp_eq_u32_e64 s[0:1], 0, v0
	v_cmp_ne_u32_e64 s[2:3], 0, v0
	v_lshlrev_b32_e32 v1, 2, v0
	v_lshrrev_b32_e32 v18, 3, v0
	v_add_u32_e32 v0, -1, v0
	v_add_lshl_u32 v29, v18, v1, 2
	v_lshrrev_b32_e32 v1, 5, v0
	v_add_lshl_u32 v30, v1, v0, 2
	v_mbcnt_lo_u32_b32 v0, -1, 0
	v_mbcnt_hi_u32_b32 v31, -1, v0
	s_movk_i32 s11, 0x64
	v_and_b32_e32 v32, 15, v31
	v_bfe_i32 v33, v31, 4, 1
	v_add_u32_e32 v34, -1, v31
	v_and_b32_e32 v35, 64, v31
.LBB137_1:                              ; =>This Inner Loop Header: Depth=1
	s_waitcnt vmcnt(3)
	v_add_u32_e32 v0, v4, v5
	v_add3_u32 v0, v0, v3, v2
	s_waitcnt vmcnt(2)
	v_add3_u32 v0, v0, v9, v8
	v_add3_u32 v0, v0, v7, v6
	s_waitcnt vmcnt(0)
	v_add3_u32 v0, v0, v17, v16
	v_add3_u32 v0, v0, v15, v14
	;; [unrolled: 1-line block ×4, first 2 shown]
	ds_write_b32 v28, v0
	s_waitcnt lgkmcnt(0)
	s_barrier
	s_and_saveexec_b64 s[8:9], vcc
	s_cbranch_execz .LBB137_3
; %bb.2:                                ;   in Loop: Header=BB137_1 Depth=1
	ds_read2_b32 v[18:19], v29 offset1:1
	ds_read2_b32 v[20:21], v29 offset0:2 offset1:3
	v_cmp_ne_u32_e64 s[4:5], 0, v32
	s_waitcnt lgkmcnt(1)
	v_add_u32_e32 v1, v19, v18
	s_waitcnt lgkmcnt(0)
	v_add3_u32 v1, v1, v20, v21
	s_nop 1
	v_mov_b32_dpp v5, v1 row_shr:1 row_mask:0xf bank_mask:0xf
	v_cndmask_b32_e64 v5, 0, v5, s[4:5]
	v_add_u32_e32 v1, v5, v1
	v_cmp_lt_u32_e64 s[4:5], 1, v32
	s_nop 0
	v_mov_b32_dpp v5, v1 row_shr:2 row_mask:0xf bank_mask:0xf
	v_cndmask_b32_e64 v5, 0, v5, s[4:5]
	v_add_u32_e32 v1, v1, v5
	v_cmp_lt_u32_e64 s[4:5], 3, v32
	;; [unrolled: 5-line block ×4, first 2 shown]
	s_nop 0
	v_mov_b32_dpp v5, v1 row_bcast:15 row_mask:0xf bank_mask:0xf
	v_and_b32_e32 v5, v33, v5
	v_add_u32_e32 v1, v1, v5
	s_nop 1
	v_mov_b32_dpp v5, v1 row_bcast:31 row_mask:0xf bank_mask:0xf
	v_cndmask_b32_e64 v5, 0, v5, s[4:5]
	v_cmp_lt_i32_e64 s[4:5], v34, v35
	v_add_u32_e32 v1, v1, v5
	s_nop 0
	v_cndmask_b32_e64 v5, v34, v31, s[4:5]
	v_lshlrev_b32_e32 v5, 2, v5
	ds_bpermute_b32 v1, v5, v1
	s_waitcnt lgkmcnt(0)
	v_add_u32_e32 v1, v1, v18
	v_cndmask_b32_e64 v0, v1, v0, s[0:1]
	v_add_u32_e32 v1, v0, v19
	ds_write2_b32 v29, v0, v1 offset1:1
	v_add_u32_e32 v0, v1, v20
	v_add_u32_e32 v1, v0, v21
	ds_write2_b32 v29, v0, v1 offset0:2 offset1:3
.LBB137_3:                              ;   in Loop: Header=BB137_1 Depth=1
	s_or_b64 exec, exec, s[8:9]
	v_mov_b32_e32 v18, s10
	s_waitcnt lgkmcnt(0)
	s_barrier
	s_and_saveexec_b64 s[4:5], s[2:3]
	s_cbranch_execz .LBB137_5
; %bb.4:                                ;   in Loop: Header=BB137_1 Depth=1
	ds_read_b32 v0, v30
	s_waitcnt lgkmcnt(0)
	v_add_u32_e32 v18, s10, v0
.LBB137_5:                              ;   in Loop: Header=BB137_1 Depth=1
	s_or_b64 exec, exec, s[4:5]
	v_add_u32_e32 v19, v18, v10
	v_add_u32_e32 v20, v19, v11
	;; [unrolled: 1-line block ×14, first 2 shown]
	s_add_i32 s11, s11, -1
	s_cmp_lg_u32 s11, 0
	v_add_u32_e32 v5, v2, v4
	s_cbranch_scc0 .LBB137_7
; %bb.6:                                ;   in Loop: Header=BB137_1 Depth=1
	v_mov_b32_e32 v11, v19
	v_mov_b32_e32 v10, v18
	;; [unrolled: 1-line block ×15, first 2 shown]
	s_branch .LBB137_1
.LBB137_7:
	v_mov_b32_e32 v6, s6
	v_mov_b32_e32 v7, s7
	v_lshl_add_u64 v[6:7], v[26:27], 2, v[6:7]
	v_mov_b32_e32 v3, v5
	global_store_dwordx4 v[6:7], v[18:21], off
	global_store_dwordx4 v[6:7], v[12:15], off offset:16
	global_store_dwordx4 v[6:7], v[22:25], off offset:32
	;; [unrolled: 1-line block ×3, first 2 shown]
	s_endpgm
	.section	.rodata,"a",@progbits
	.p2align	6, 0x0
	.amdhsa_kernel _Z6kernelI14exclusive_scanILN6hipcub18BlockScanAlgorithmE1EEiLj256ELj16ELj100EEvPKT0_PS4_S4_
		.amdhsa_group_segment_fixed_size 1056
		.amdhsa_private_segment_fixed_size 0
		.amdhsa_kernarg_size 280
		.amdhsa_user_sgpr_count 2
		.amdhsa_user_sgpr_dispatch_ptr 0
		.amdhsa_user_sgpr_queue_ptr 0
		.amdhsa_user_sgpr_kernarg_segment_ptr 1
		.amdhsa_user_sgpr_dispatch_id 0
		.amdhsa_user_sgpr_kernarg_preload_length 0
		.amdhsa_user_sgpr_kernarg_preload_offset 0
		.amdhsa_user_sgpr_private_segment_size 0
		.amdhsa_uses_dynamic_stack 0
		.amdhsa_enable_private_segment 0
		.amdhsa_system_sgpr_workgroup_id_x 1
		.amdhsa_system_sgpr_workgroup_id_y 0
		.amdhsa_system_sgpr_workgroup_id_z 0
		.amdhsa_system_sgpr_workgroup_info 0
		.amdhsa_system_vgpr_workitem_id 0
		.amdhsa_next_free_vgpr 36
		.amdhsa_next_free_sgpr 12
		.amdhsa_accum_offset 36
		.amdhsa_reserve_vcc 1
		.amdhsa_float_round_mode_32 0
		.amdhsa_float_round_mode_16_64 0
		.amdhsa_float_denorm_mode_32 3
		.amdhsa_float_denorm_mode_16_64 3
		.amdhsa_dx10_clamp 1
		.amdhsa_ieee_mode 1
		.amdhsa_fp16_overflow 0
		.amdhsa_tg_split 0
		.amdhsa_exception_fp_ieee_invalid_op 0
		.amdhsa_exception_fp_denorm_src 0
		.amdhsa_exception_fp_ieee_div_zero 0
		.amdhsa_exception_fp_ieee_overflow 0
		.amdhsa_exception_fp_ieee_underflow 0
		.amdhsa_exception_fp_ieee_inexact 0
		.amdhsa_exception_int_div_zero 0
	.end_amdhsa_kernel
	.section	.text._Z6kernelI14exclusive_scanILN6hipcub18BlockScanAlgorithmE1EEiLj256ELj16ELj100EEvPKT0_PS4_S4_,"axG",@progbits,_Z6kernelI14exclusive_scanILN6hipcub18BlockScanAlgorithmE1EEiLj256ELj16ELj100EEvPKT0_PS4_S4_,comdat
.Lfunc_end137:
	.size	_Z6kernelI14exclusive_scanILN6hipcub18BlockScanAlgorithmE1EEiLj256ELj16ELj100EEvPKT0_PS4_S4_, .Lfunc_end137-_Z6kernelI14exclusive_scanILN6hipcub18BlockScanAlgorithmE1EEiLj256ELj16ELj100EEvPKT0_PS4_S4_
                                        ; -- End function
	.section	.AMDGPU.csdata,"",@progbits
; Kernel info:
; codeLenInByte = 828
; NumSgprs: 18
; NumVgprs: 36
; NumAgprs: 0
; TotalNumVgprs: 36
; ScratchSize: 0
; MemoryBound: 0
; FloatMode: 240
; IeeeMode: 1
; LDSByteSize: 1056 bytes/workgroup (compile time only)
; SGPRBlocks: 2
; VGPRBlocks: 4
; NumSGPRsForWavesPerEU: 18
; NumVGPRsForWavesPerEU: 36
; AccumOffset: 36
; Occupancy: 8
; WaveLimiterHint : 0
; COMPUTE_PGM_RSRC2:SCRATCH_EN: 0
; COMPUTE_PGM_RSRC2:USER_SGPR: 2
; COMPUTE_PGM_RSRC2:TRAP_HANDLER: 0
; COMPUTE_PGM_RSRC2:TGID_X_EN: 1
; COMPUTE_PGM_RSRC2:TGID_Y_EN: 0
; COMPUTE_PGM_RSRC2:TGID_Z_EN: 0
; COMPUTE_PGM_RSRC2:TIDIG_COMP_CNT: 0
; COMPUTE_PGM_RSRC3_GFX90A:ACCUM_OFFSET: 8
; COMPUTE_PGM_RSRC3_GFX90A:TG_SPLIT: 0
	.section	.text._Z6kernelI14exclusive_scanILN6hipcub18BlockScanAlgorithmE1EEfLj256ELj1ELj100EEvPKT0_PS4_S4_,"axG",@progbits,_Z6kernelI14exclusive_scanILN6hipcub18BlockScanAlgorithmE1EEfLj256ELj1ELj100EEvPKT0_PS4_S4_,comdat
	.protected	_Z6kernelI14exclusive_scanILN6hipcub18BlockScanAlgorithmE1EEfLj256ELj1ELj100EEvPKT0_PS4_S4_ ; -- Begin function _Z6kernelI14exclusive_scanILN6hipcub18BlockScanAlgorithmE1EEfLj256ELj1ELj100EEvPKT0_PS4_S4_
	.globl	_Z6kernelI14exclusive_scanILN6hipcub18BlockScanAlgorithmE1EEfLj256ELj1ELj100EEvPKT0_PS4_S4_
	.p2align	8
	.type	_Z6kernelI14exclusive_scanILN6hipcub18BlockScanAlgorithmE1EEfLj256ELj1ELj100EEvPKT0_PS4_S4_,@function
_Z6kernelI14exclusive_scanILN6hipcub18BlockScanAlgorithmE1EEfLj256ELj1ELj100EEvPKT0_PS4_S4_: ; @_Z6kernelI14exclusive_scanILN6hipcub18BlockScanAlgorithmE1EEfLj256ELj1ELj100EEvPKT0_PS4_S4_
; %bb.0:
	s_load_dwordx4 s[4:7], s[0:1], 0x0
	s_load_dword s3, s[0:1], 0x24
	s_load_dword s10, s[0:1], 0x10
	v_mov_b32_e32 v3, 0
	v_lshrrev_b32_e32 v1, 5, v0
	s_waitcnt lgkmcnt(0)
	v_mov_b32_e32 v4, s4
	s_and_b32 s0, s3, 0xffff
	s_mul_i32 s2, s2, s0
	v_mov_b32_e32 v5, s5
	v_add_u32_e32 v2, s2, v0
	v_lshl_add_u64 v[4:5], v[2:3], 2, v[4:5]
	global_load_dword v4, v[4:5], off
	v_add_lshl_u32 v1, v1, v0, 2
	v_cmp_gt_u32_e32 vcc, 64, v0
	v_cmp_eq_u32_e64 s[0:1], 0, v0
	v_cmp_ne_u32_e64 s[2:3], 0, v0
	v_lshlrev_b32_e32 v5, 2, v0
	v_lshrrev_b32_e32 v6, 3, v0
	v_add_u32_e32 v0, -1, v0
	v_add_lshl_u32 v5, v6, v5, 2
	v_lshrrev_b32_e32 v6, 5, v0
	v_add_lshl_u32 v0, v6, v0, 2
	v_mbcnt_lo_u32_b32 v6, -1, 0
	v_mbcnt_hi_u32_b32 v6, -1, v6
	s_movk_i32 s11, 0x64
	v_and_b32_e32 v7, 15, v6
	v_and_b32_e32 v8, 16, v6
	v_add_u32_e32 v9, -1, v6
	v_and_b32_e32 v10, 64, v6
	s_branch .LBB138_2
.LBB138_1:                              ;   in Loop: Header=BB138_2 Depth=1
	s_or_b64 exec, exec, s[4:5]
	s_add_i32 s11, s11, -1
	s_cmp_lg_u32 s11, 0
	s_cbranch_scc0 .LBB138_6
.LBB138_2:                              ; =>This Inner Loop Header: Depth=1
	s_waitcnt vmcnt(0)
	ds_write_b32 v1, v4
	s_waitcnt lgkmcnt(0)
	s_barrier
	s_and_saveexec_b64 s[8:9], vcc
	s_cbranch_execz .LBB138_4
; %bb.3:                                ;   in Loop: Header=BB138_2 Depth=1
	ds_read2_b32 v[12:13], v5 offset1:1
	ds_read2_b32 v[14:15], v5 offset0:2 offset1:3
	v_cmp_eq_u32_e64 s[4:5], 0, v7
	s_waitcnt lgkmcnt(1)
	v_add_f32_e32 v11, v12, v13
	s_waitcnt lgkmcnt(0)
	v_add_f32_e32 v11, v11, v14
	v_add_f32_e32 v11, v11, v15
	s_nop 1
	v_mov_b32_dpp v16, v11 row_shr:1 row_mask:0xf bank_mask:0xf
	v_add_f32_e32 v16, v11, v16
	v_cndmask_b32_e64 v11, v16, v11, s[4:5]
	v_cmp_lt_u32_e64 s[4:5], 1, v7
	s_nop 0
	v_mov_b32_dpp v16, v11 row_shr:2 row_mask:0xf bank_mask:0xf
	v_add_f32_e32 v16, v11, v16
	v_cndmask_b32_e64 v11, v11, v16, s[4:5]
	v_cmp_lt_u32_e64 s[4:5], 3, v7
	;; [unrolled: 5-line block ×3, first 2 shown]
	s_nop 0
	v_mov_b32_dpp v16, v11 row_shr:8 row_mask:0xf bank_mask:0xf
	v_add_f32_e32 v16, v11, v16
	v_cndmask_b32_e64 v11, v11, v16, s[4:5]
	v_cmp_eq_u32_e64 s[4:5], 0, v8
	s_nop 0
	v_mov_b32_dpp v16, v11 row_bcast:15 row_mask:0xf bank_mask:0xf
	v_add_f32_e32 v16, v11, v16
	v_cndmask_b32_e64 v11, v16, v11, s[4:5]
	v_cmp_lt_u32_e64 s[4:5], 31, v6
	s_nop 0
	v_mov_b32_dpp v16, v11 row_bcast:31 row_mask:0xf bank_mask:0xf
	v_add_f32_e32 v16, v11, v16
	v_cndmask_b32_e64 v11, v11, v16, s[4:5]
	v_cmp_lt_i32_e64 s[4:5], v9, v10
	s_nop 1
	v_cndmask_b32_e64 v16, v9, v6, s[4:5]
	v_lshlrev_b32_e32 v16, 2, v16
	ds_bpermute_b32 v11, v16, v11
	s_waitcnt lgkmcnt(0)
	v_add_f32_e32 v11, v12, v11
	v_cndmask_b32_e64 v4, v11, v4, s[0:1]
	v_add_f32_e32 v11, v13, v4
	ds_write2_b32 v5, v4, v11 offset1:1
	v_add_f32_e32 v4, v14, v11
	v_add_f32_e32 v11, v15, v4
	ds_write2_b32 v5, v4, v11 offset0:2 offset1:3
.LBB138_4:                              ;   in Loop: Header=BB138_2 Depth=1
	s_or_b64 exec, exec, s[8:9]
	v_mov_b32_e32 v4, s10
	s_waitcnt lgkmcnt(0)
	s_barrier
	s_and_saveexec_b64 s[4:5], s[2:3]
	s_cbranch_execz .LBB138_1
; %bb.5:                                ;   in Loop: Header=BB138_2 Depth=1
	ds_read_b32 v4, v0
	s_waitcnt lgkmcnt(0)
	v_add_f32_e32 v4, s10, v4
	s_branch .LBB138_1
.LBB138_6:
	v_mov_b32_e32 v0, s6
	v_mov_b32_e32 v1, s7
	v_lshl_add_u64 v[0:1], v[2:3], 2, v[0:1]
	global_store_dword v[0:1], v4, off
	s_endpgm
	.section	.rodata,"a",@progbits
	.p2align	6, 0x0
	.amdhsa_kernel _Z6kernelI14exclusive_scanILN6hipcub18BlockScanAlgorithmE1EEfLj256ELj1ELj100EEvPKT0_PS4_S4_
		.amdhsa_group_segment_fixed_size 1056
		.amdhsa_private_segment_fixed_size 0
		.amdhsa_kernarg_size 280
		.amdhsa_user_sgpr_count 2
		.amdhsa_user_sgpr_dispatch_ptr 0
		.amdhsa_user_sgpr_queue_ptr 0
		.amdhsa_user_sgpr_kernarg_segment_ptr 1
		.amdhsa_user_sgpr_dispatch_id 0
		.amdhsa_user_sgpr_kernarg_preload_length 0
		.amdhsa_user_sgpr_kernarg_preload_offset 0
		.amdhsa_user_sgpr_private_segment_size 0
		.amdhsa_uses_dynamic_stack 0
		.amdhsa_enable_private_segment 0
		.amdhsa_system_sgpr_workgroup_id_x 1
		.amdhsa_system_sgpr_workgroup_id_y 0
		.amdhsa_system_sgpr_workgroup_id_z 0
		.amdhsa_system_sgpr_workgroup_info 0
		.amdhsa_system_vgpr_workitem_id 0
		.amdhsa_next_free_vgpr 17
		.amdhsa_next_free_sgpr 12
		.amdhsa_accum_offset 20
		.amdhsa_reserve_vcc 1
		.amdhsa_float_round_mode_32 0
		.amdhsa_float_round_mode_16_64 0
		.amdhsa_float_denorm_mode_32 3
		.amdhsa_float_denorm_mode_16_64 3
		.amdhsa_dx10_clamp 1
		.amdhsa_ieee_mode 1
		.amdhsa_fp16_overflow 0
		.amdhsa_tg_split 0
		.amdhsa_exception_fp_ieee_invalid_op 0
		.amdhsa_exception_fp_denorm_src 0
		.amdhsa_exception_fp_ieee_div_zero 0
		.amdhsa_exception_fp_ieee_overflow 0
		.amdhsa_exception_fp_ieee_underflow 0
		.amdhsa_exception_fp_ieee_inexact 0
		.amdhsa_exception_int_div_zero 0
	.end_amdhsa_kernel
	.section	.text._Z6kernelI14exclusive_scanILN6hipcub18BlockScanAlgorithmE1EEfLj256ELj1ELj100EEvPKT0_PS4_S4_,"axG",@progbits,_Z6kernelI14exclusive_scanILN6hipcub18BlockScanAlgorithmE1EEfLj256ELj1ELj100EEvPKT0_PS4_S4_,comdat
.Lfunc_end138:
	.size	_Z6kernelI14exclusive_scanILN6hipcub18BlockScanAlgorithmE1EEfLj256ELj1ELj100EEvPKT0_PS4_S4_, .Lfunc_end138-_Z6kernelI14exclusive_scanILN6hipcub18BlockScanAlgorithmE1EEfLj256ELj1ELj100EEvPKT0_PS4_S4_
                                        ; -- End function
	.section	.AMDGPU.csdata,"",@progbits
; Kernel info:
; codeLenInByte = 596
; NumSgprs: 18
; NumVgprs: 17
; NumAgprs: 0
; TotalNumVgprs: 17
; ScratchSize: 0
; MemoryBound: 0
; FloatMode: 240
; IeeeMode: 1
; LDSByteSize: 1056 bytes/workgroup (compile time only)
; SGPRBlocks: 2
; VGPRBlocks: 2
; NumSGPRsForWavesPerEU: 18
; NumVGPRsForWavesPerEU: 17
; AccumOffset: 20
; Occupancy: 8
; WaveLimiterHint : 0
; COMPUTE_PGM_RSRC2:SCRATCH_EN: 0
; COMPUTE_PGM_RSRC2:USER_SGPR: 2
; COMPUTE_PGM_RSRC2:TRAP_HANDLER: 0
; COMPUTE_PGM_RSRC2:TGID_X_EN: 1
; COMPUTE_PGM_RSRC2:TGID_Y_EN: 0
; COMPUTE_PGM_RSRC2:TGID_Z_EN: 0
; COMPUTE_PGM_RSRC2:TIDIG_COMP_CNT: 0
; COMPUTE_PGM_RSRC3_GFX90A:ACCUM_OFFSET: 4
; COMPUTE_PGM_RSRC3_GFX90A:TG_SPLIT: 0
	.section	.text._Z6kernelI14exclusive_scanILN6hipcub18BlockScanAlgorithmE1EEfLj256ELj3ELj100EEvPKT0_PS4_S4_,"axG",@progbits,_Z6kernelI14exclusive_scanILN6hipcub18BlockScanAlgorithmE1EEfLj256ELj3ELj100EEvPKT0_PS4_S4_,comdat
	.protected	_Z6kernelI14exclusive_scanILN6hipcub18BlockScanAlgorithmE1EEfLj256ELj3ELj100EEvPKT0_PS4_S4_ ; -- Begin function _Z6kernelI14exclusive_scanILN6hipcub18BlockScanAlgorithmE1EEfLj256ELj3ELj100EEvPKT0_PS4_S4_
	.globl	_Z6kernelI14exclusive_scanILN6hipcub18BlockScanAlgorithmE1EEfLj256ELj3ELj100EEvPKT0_PS4_S4_
	.p2align	8
	.type	_Z6kernelI14exclusive_scanILN6hipcub18BlockScanAlgorithmE1EEfLj256ELj3ELj100EEvPKT0_PS4_S4_,@function
_Z6kernelI14exclusive_scanILN6hipcub18BlockScanAlgorithmE1EEfLj256ELj3ELj100EEvPKT0_PS4_S4_: ; @_Z6kernelI14exclusive_scanILN6hipcub18BlockScanAlgorithmE1EEfLj256ELj3ELj100EEvPKT0_PS4_S4_
; %bb.0:
	s_load_dword s3, s[0:1], 0x24
	s_load_dwordx4 s[4:7], s[0:1], 0x0
	s_load_dword s10, s[0:1], 0x10
	v_mov_b32_e32 v3, 0
	v_mov_b32_e32 v5, v3
	s_waitcnt lgkmcnt(0)
	s_and_b32 s0, s3, 0xffff
	s_mul_i32 s2, s2, s0
	v_add_u32_e32 v1, s2, v0
	v_lshl_add_u32 v2, v1, 1, v1
	v_lshl_add_u64 v[10:11], v[2:3], 2, s[4:5]
	v_add_u32_e32 v4, 1, v2
	v_add_u32_e32 v6, 2, v2
	v_mov_b32_e32 v7, v3
	v_lshl_add_u64 v[12:13], v[4:5], 2, s[4:5]
	v_lshl_add_u64 v[14:15], v[6:7], 2, s[4:5]
	global_load_dword v9, v[10:11], off
	global_load_dword v1, v[12:13], off
	;; [unrolled: 1-line block ×3, first 2 shown]
	v_lshrrev_b32_e32 v8, 5, v0
	v_add_lshl_u32 v8, v8, v0, 2
	v_cmp_gt_u32_e32 vcc, 64, v0
	v_cmp_eq_u32_e64 s[0:1], 0, v0
	v_cmp_ne_u32_e64 s[2:3], 0, v0
	v_lshlrev_b32_e32 v10, 2, v0
	v_lshrrev_b32_e32 v11, 3, v0
	v_add_u32_e32 v0, -1, v0
	v_add_lshl_u32 v10, v11, v10, 2
	v_lshrrev_b32_e32 v11, 5, v0
	v_add_lshl_u32 v0, v11, v0, 2
	v_mbcnt_lo_u32_b32 v11, -1, 0
	v_mbcnt_hi_u32_b32 v11, -1, v11
	s_movk_i32 s11, 0x64
	v_and_b32_e32 v12, 15, v11
	v_and_b32_e32 v13, 16, v11
	v_add_u32_e32 v14, -1, v11
	v_and_b32_e32 v15, 64, v11
.LBB139_1:                              ; =>This Inner Loop Header: Depth=1
	s_waitcnt vmcnt(1)
	v_add_f32_e32 v17, v9, v1
	s_waitcnt vmcnt(0)
	v_add_f32_e32 v16, v16, v17
	ds_write_b32 v8, v16
	s_waitcnt lgkmcnt(0)
	s_barrier
	s_and_saveexec_b64 s[8:9], vcc
	s_cbranch_execz .LBB139_3
; %bb.2:                                ;   in Loop: Header=BB139_1 Depth=1
	ds_read2_b32 v[18:19], v10 offset1:1
	ds_read2_b32 v[20:21], v10 offset0:2 offset1:3
	v_cmp_eq_u32_e64 s[4:5], 0, v12
	s_waitcnt lgkmcnt(1)
	v_add_f32_e32 v17, v18, v19
	s_waitcnt lgkmcnt(0)
	v_add_f32_e32 v17, v17, v20
	v_add_f32_e32 v17, v17, v21
	s_nop 1
	v_mov_b32_dpp v22, v17 row_shr:1 row_mask:0xf bank_mask:0xf
	v_add_f32_e32 v22, v17, v22
	v_cndmask_b32_e64 v17, v22, v17, s[4:5]
	v_cmp_lt_u32_e64 s[4:5], 1, v12
	s_nop 0
	v_mov_b32_dpp v22, v17 row_shr:2 row_mask:0xf bank_mask:0xf
	v_add_f32_e32 v22, v17, v22
	v_cndmask_b32_e64 v17, v17, v22, s[4:5]
	v_cmp_lt_u32_e64 s[4:5], 3, v12
	;; [unrolled: 5-line block ×3, first 2 shown]
	s_nop 0
	v_mov_b32_dpp v22, v17 row_shr:8 row_mask:0xf bank_mask:0xf
	v_add_f32_e32 v22, v17, v22
	v_cndmask_b32_e64 v17, v17, v22, s[4:5]
	v_cmp_eq_u32_e64 s[4:5], 0, v13
	s_nop 0
	v_mov_b32_dpp v22, v17 row_bcast:15 row_mask:0xf bank_mask:0xf
	v_add_f32_e32 v22, v17, v22
	v_cndmask_b32_e64 v17, v22, v17, s[4:5]
	v_cmp_lt_u32_e64 s[4:5], 31, v11
	s_nop 0
	v_mov_b32_dpp v22, v17 row_bcast:31 row_mask:0xf bank_mask:0xf
	v_add_f32_e32 v22, v17, v22
	v_cndmask_b32_e64 v17, v17, v22, s[4:5]
	v_cmp_lt_i32_e64 s[4:5], v14, v15
	s_nop 1
	v_cndmask_b32_e64 v22, v14, v11, s[4:5]
	v_lshlrev_b32_e32 v22, 2, v22
	ds_bpermute_b32 v17, v22, v17
	s_waitcnt lgkmcnt(0)
	v_add_f32_e32 v17, v18, v17
	v_cndmask_b32_e64 v16, v17, v16, s[0:1]
	v_add_f32_e32 v17, v19, v16
	ds_write2_b32 v10, v16, v17 offset1:1
	v_add_f32_e32 v16, v20, v17
	v_add_f32_e32 v17, v21, v16
	ds_write2_b32 v10, v16, v17 offset0:2 offset1:3
.LBB139_3:                              ;   in Loop: Header=BB139_1 Depth=1
	s_or_b64 exec, exec, s[8:9]
	v_mov_b32_e32 v17, s10
	s_waitcnt lgkmcnt(0)
	s_barrier
	s_and_saveexec_b64 s[4:5], s[2:3]
	s_cbranch_execz .LBB139_5
; %bb.4:                                ;   in Loop: Header=BB139_1 Depth=1
	ds_read_b32 v16, v0
	s_waitcnt lgkmcnt(0)
	v_add_f32_e32 v17, s10, v16
.LBB139_5:                              ;   in Loop: Header=BB139_1 Depth=1
	s_or_b64 exec, exec, s[4:5]
	v_add_f32_e32 v18, v9, v17
	s_add_i32 s11, s11, -1
	s_cmp_lg_u32 s11, 0
	v_add_f32_e32 v16, v1, v18
	s_cbranch_scc0 .LBB139_7
; %bb.6:                                ;   in Loop: Header=BB139_1 Depth=1
	v_mov_b32_e32 v9, v17
	v_mov_b32_e32 v1, v18
	s_branch .LBB139_1
.LBB139_7:
	v_lshl_add_u64 v[0:1], v[2:3], 2, s[6:7]
	global_store_dword v[0:1], v17, off
	v_lshl_add_u64 v[0:1], v[4:5], 2, s[6:7]
	global_store_dword v[0:1], v18, off
	;; [unrolled: 2-line block ×3, first 2 shown]
	s_endpgm
	.section	.rodata,"a",@progbits
	.p2align	6, 0x0
	.amdhsa_kernel _Z6kernelI14exclusive_scanILN6hipcub18BlockScanAlgorithmE1EEfLj256ELj3ELj100EEvPKT0_PS4_S4_
		.amdhsa_group_segment_fixed_size 1056
		.amdhsa_private_segment_fixed_size 0
		.amdhsa_kernarg_size 280
		.amdhsa_user_sgpr_count 2
		.amdhsa_user_sgpr_dispatch_ptr 0
		.amdhsa_user_sgpr_queue_ptr 0
		.amdhsa_user_sgpr_kernarg_segment_ptr 1
		.amdhsa_user_sgpr_dispatch_id 0
		.amdhsa_user_sgpr_kernarg_preload_length 0
		.amdhsa_user_sgpr_kernarg_preload_offset 0
		.amdhsa_user_sgpr_private_segment_size 0
		.amdhsa_uses_dynamic_stack 0
		.amdhsa_enable_private_segment 0
		.amdhsa_system_sgpr_workgroup_id_x 1
		.amdhsa_system_sgpr_workgroup_id_y 0
		.amdhsa_system_sgpr_workgroup_id_z 0
		.amdhsa_system_sgpr_workgroup_info 0
		.amdhsa_system_vgpr_workitem_id 0
		.amdhsa_next_free_vgpr 23
		.amdhsa_next_free_sgpr 12
		.amdhsa_accum_offset 24
		.amdhsa_reserve_vcc 1
		.amdhsa_float_round_mode_32 0
		.amdhsa_float_round_mode_16_64 0
		.amdhsa_float_denorm_mode_32 3
		.amdhsa_float_denorm_mode_16_64 3
		.amdhsa_dx10_clamp 1
		.amdhsa_ieee_mode 1
		.amdhsa_fp16_overflow 0
		.amdhsa_tg_split 0
		.amdhsa_exception_fp_ieee_invalid_op 0
		.amdhsa_exception_fp_denorm_src 0
		.amdhsa_exception_fp_ieee_div_zero 0
		.amdhsa_exception_fp_ieee_overflow 0
		.amdhsa_exception_fp_ieee_underflow 0
		.amdhsa_exception_fp_ieee_inexact 0
		.amdhsa_exception_int_div_zero 0
	.end_amdhsa_kernel
	.section	.text._Z6kernelI14exclusive_scanILN6hipcub18BlockScanAlgorithmE1EEfLj256ELj3ELj100EEvPKT0_PS4_S4_,"axG",@progbits,_Z6kernelI14exclusive_scanILN6hipcub18BlockScanAlgorithmE1EEfLj256ELj3ELj100EEvPKT0_PS4_S4_,comdat
.Lfunc_end139:
	.size	_Z6kernelI14exclusive_scanILN6hipcub18BlockScanAlgorithmE1EEfLj256ELj3ELj100EEvPKT0_PS4_S4_, .Lfunc_end139-_Z6kernelI14exclusive_scanILN6hipcub18BlockScanAlgorithmE1EEfLj256ELj3ELj100EEvPKT0_PS4_S4_
                                        ; -- End function
	.section	.AMDGPU.csdata,"",@progbits
; Kernel info:
; codeLenInByte = 692
; NumSgprs: 18
; NumVgprs: 23
; NumAgprs: 0
; TotalNumVgprs: 23
; ScratchSize: 0
; MemoryBound: 0
; FloatMode: 240
; IeeeMode: 1
; LDSByteSize: 1056 bytes/workgroup (compile time only)
; SGPRBlocks: 2
; VGPRBlocks: 2
; NumSGPRsForWavesPerEU: 18
; NumVGPRsForWavesPerEU: 23
; AccumOffset: 24
; Occupancy: 8
; WaveLimiterHint : 0
; COMPUTE_PGM_RSRC2:SCRATCH_EN: 0
; COMPUTE_PGM_RSRC2:USER_SGPR: 2
; COMPUTE_PGM_RSRC2:TRAP_HANDLER: 0
; COMPUTE_PGM_RSRC2:TGID_X_EN: 1
; COMPUTE_PGM_RSRC2:TGID_Y_EN: 0
; COMPUTE_PGM_RSRC2:TGID_Z_EN: 0
; COMPUTE_PGM_RSRC2:TIDIG_COMP_CNT: 0
; COMPUTE_PGM_RSRC3_GFX90A:ACCUM_OFFSET: 5
; COMPUTE_PGM_RSRC3_GFX90A:TG_SPLIT: 0
	.section	.text._Z6kernelI14exclusive_scanILN6hipcub18BlockScanAlgorithmE1EEfLj256ELj4ELj100EEvPKT0_PS4_S4_,"axG",@progbits,_Z6kernelI14exclusive_scanILN6hipcub18BlockScanAlgorithmE1EEfLj256ELj4ELj100EEvPKT0_PS4_S4_,comdat
	.protected	_Z6kernelI14exclusive_scanILN6hipcub18BlockScanAlgorithmE1EEfLj256ELj4ELj100EEvPKT0_PS4_S4_ ; -- Begin function _Z6kernelI14exclusive_scanILN6hipcub18BlockScanAlgorithmE1EEfLj256ELj4ELj100EEvPKT0_PS4_S4_
	.globl	_Z6kernelI14exclusive_scanILN6hipcub18BlockScanAlgorithmE1EEfLj256ELj4ELj100EEvPKT0_PS4_S4_
	.p2align	8
	.type	_Z6kernelI14exclusive_scanILN6hipcub18BlockScanAlgorithmE1EEfLj256ELj4ELj100EEvPKT0_PS4_S4_,@function
_Z6kernelI14exclusive_scanILN6hipcub18BlockScanAlgorithmE1EEfLj256ELj4ELj100EEvPKT0_PS4_S4_: ; @_Z6kernelI14exclusive_scanILN6hipcub18BlockScanAlgorithmE1EEfLj256ELj4ELj100EEvPKT0_PS4_S4_
; %bb.0:
	s_load_dwordx4 s[4:7], s[0:1], 0x0
	s_load_dword s3, s[0:1], 0x24
	s_load_dword s10, s[0:1], 0x10
	v_mov_b32_e32 v11, 0
	v_lshrrev_b32_e32 v1, 5, v0
	s_waitcnt lgkmcnt(0)
	v_mov_b32_e32 v2, s4
	s_and_b32 s0, s3, 0xffff
	s_mul_i32 s2, s2, s0
	v_mov_b32_e32 v3, s5
	v_add_lshl_u32 v10, s2, v0, 2
	v_lshl_add_u64 v[2:3], v[10:11], 2, v[2:3]
	global_load_dwordx4 v[2:5], v[2:3], off
	v_add_lshl_u32 v1, v1, v0, 2
	v_cmp_gt_u32_e32 vcc, 64, v0
	v_cmp_eq_u32_e64 s[0:1], 0, v0
	v_cmp_ne_u32_e64 s[2:3], 0, v0
	v_lshlrev_b32_e32 v6, 2, v0
	v_lshrrev_b32_e32 v7, 3, v0
	v_add_u32_e32 v0, -1, v0
	v_add_lshl_u32 v9, v7, v6, 2
	v_lshrrev_b32_e32 v6, 5, v0
	v_add_lshl_u32 v0, v6, v0, 2
	v_mbcnt_lo_u32_b32 v6, -1, 0
	v_mbcnt_hi_u32_b32 v12, -1, v6
	s_movk_i32 s11, 0x64
	v_and_b32_e32 v13, 15, v12
	v_and_b32_e32 v14, 16, v12
	v_add_u32_e32 v15, -1, v12
	v_and_b32_e32 v16, 64, v12
.LBB140_1:                              ; =>This Inner Loop Header: Depth=1
	s_waitcnt vmcnt(0)
	v_add_f32_e32 v6, v2, v3
	v_add_f32_e32 v6, v4, v6
	v_add_f32_e32 v5, v5, v6
	ds_write_b32 v1, v5
	s_waitcnt lgkmcnt(0)
	s_barrier
	s_and_saveexec_b64 s[8:9], vcc
	s_cbranch_execz .LBB140_3
; %bb.2:                                ;   in Loop: Header=BB140_1 Depth=1
	ds_read2_b32 v[6:7], v9 offset1:1
	ds_read2_b32 v[18:19], v9 offset0:2 offset1:3
	v_cmp_eq_u32_e64 s[4:5], 0, v13
	s_waitcnt lgkmcnt(1)
	v_add_f32_e32 v8, v6, v7
	s_waitcnt lgkmcnt(0)
	v_add_f32_e32 v8, v8, v18
	v_add_f32_e32 v8, v8, v19
	s_nop 1
	v_mov_b32_dpp v17, v8 row_shr:1 row_mask:0xf bank_mask:0xf
	v_add_f32_e32 v17, v8, v17
	v_cndmask_b32_e64 v8, v17, v8, s[4:5]
	v_cmp_lt_u32_e64 s[4:5], 1, v13
	s_nop 0
	v_mov_b32_dpp v17, v8 row_shr:2 row_mask:0xf bank_mask:0xf
	v_add_f32_e32 v17, v8, v17
	v_cndmask_b32_e64 v8, v8, v17, s[4:5]
	v_cmp_lt_u32_e64 s[4:5], 3, v13
	;; [unrolled: 5-line block ×3, first 2 shown]
	s_nop 0
	v_mov_b32_dpp v17, v8 row_shr:8 row_mask:0xf bank_mask:0xf
	v_add_f32_e32 v17, v8, v17
	v_cndmask_b32_e64 v8, v8, v17, s[4:5]
	v_cmp_eq_u32_e64 s[4:5], 0, v14
	s_nop 0
	v_mov_b32_dpp v17, v8 row_bcast:15 row_mask:0xf bank_mask:0xf
	v_add_f32_e32 v17, v8, v17
	v_cndmask_b32_e64 v8, v17, v8, s[4:5]
	v_cmp_lt_u32_e64 s[4:5], 31, v12
	s_nop 0
	v_mov_b32_dpp v17, v8 row_bcast:31 row_mask:0xf bank_mask:0xf
	v_add_f32_e32 v17, v8, v17
	v_cndmask_b32_e64 v8, v8, v17, s[4:5]
	v_cmp_lt_i32_e64 s[4:5], v15, v16
	s_nop 1
	v_cndmask_b32_e64 v17, v15, v12, s[4:5]
	v_lshlrev_b32_e32 v17, 2, v17
	ds_bpermute_b32 v8, v17, v8
	s_waitcnt lgkmcnt(0)
	v_add_f32_e32 v6, v6, v8
	v_cndmask_b32_e64 v5, v6, v5, s[0:1]
	v_add_f32_e32 v6, v7, v5
	ds_write2_b32 v9, v5, v6 offset1:1
	v_add_f32_e32 v5, v18, v6
	v_add_f32_e32 v6, v19, v5
	ds_write2_b32 v9, v5, v6 offset0:2 offset1:3
.LBB140_3:                              ;   in Loop: Header=BB140_1 Depth=1
	s_or_b64 exec, exec, s[8:9]
	v_mov_b32_e32 v6, s10
	s_waitcnt lgkmcnt(0)
	s_barrier
	s_and_saveexec_b64 s[4:5], s[2:3]
	s_cbranch_execz .LBB140_5
; %bb.4:                                ;   in Loop: Header=BB140_1 Depth=1
	ds_read_b32 v5, v0
	s_waitcnt lgkmcnt(0)
	v_add_f32_e32 v6, s10, v5
.LBB140_5:                              ;   in Loop: Header=BB140_1 Depth=1
	s_or_b64 exec, exec, s[4:5]
	v_add_f32_e32 v7, v2, v6
	v_add_f32_e32 v8, v3, v7
	s_add_i32 s11, s11, -1
	s_cmp_lg_u32 s11, 0
	v_add_f32_e32 v5, v4, v8
	s_cbranch_scc0 .LBB140_7
; %bb.6:                                ;   in Loop: Header=BB140_1 Depth=1
	v_mov_b32_e32 v2, v6
	v_mov_b32_e32 v3, v7
	;; [unrolled: 1-line block ×3, first 2 shown]
	s_branch .LBB140_1
.LBB140_7:
	v_mov_b32_e32 v0, s6
	v_mov_b32_e32 v1, s7
	v_lshl_add_u64 v[0:1], v[10:11], 2, v[0:1]
	v_mov_b32_e32 v9, v5
	global_store_dwordx4 v[0:1], v[6:9], off
	s_endpgm
	.section	.rodata,"a",@progbits
	.p2align	6, 0x0
	.amdhsa_kernel _Z6kernelI14exclusive_scanILN6hipcub18BlockScanAlgorithmE1EEfLj256ELj4ELj100EEvPKT0_PS4_S4_
		.amdhsa_group_segment_fixed_size 1056
		.amdhsa_private_segment_fixed_size 0
		.amdhsa_kernarg_size 280
		.amdhsa_user_sgpr_count 2
		.amdhsa_user_sgpr_dispatch_ptr 0
		.amdhsa_user_sgpr_queue_ptr 0
		.amdhsa_user_sgpr_kernarg_segment_ptr 1
		.amdhsa_user_sgpr_dispatch_id 0
		.amdhsa_user_sgpr_kernarg_preload_length 0
		.amdhsa_user_sgpr_kernarg_preload_offset 0
		.amdhsa_user_sgpr_private_segment_size 0
		.amdhsa_uses_dynamic_stack 0
		.amdhsa_enable_private_segment 0
		.amdhsa_system_sgpr_workgroup_id_x 1
		.amdhsa_system_sgpr_workgroup_id_y 0
		.amdhsa_system_sgpr_workgroup_id_z 0
		.amdhsa_system_sgpr_workgroup_info 0
		.amdhsa_system_vgpr_workitem_id 0
		.amdhsa_next_free_vgpr 20
		.amdhsa_next_free_sgpr 12
		.amdhsa_accum_offset 20
		.amdhsa_reserve_vcc 1
		.amdhsa_float_round_mode_32 0
		.amdhsa_float_round_mode_16_64 0
		.amdhsa_float_denorm_mode_32 3
		.amdhsa_float_denorm_mode_16_64 3
		.amdhsa_dx10_clamp 1
		.amdhsa_ieee_mode 1
		.amdhsa_fp16_overflow 0
		.amdhsa_tg_split 0
		.amdhsa_exception_fp_ieee_invalid_op 0
		.amdhsa_exception_fp_denorm_src 0
		.amdhsa_exception_fp_ieee_div_zero 0
		.amdhsa_exception_fp_ieee_overflow 0
		.amdhsa_exception_fp_ieee_underflow 0
		.amdhsa_exception_fp_ieee_inexact 0
		.amdhsa_exception_int_div_zero 0
	.end_amdhsa_kernel
	.section	.text._Z6kernelI14exclusive_scanILN6hipcub18BlockScanAlgorithmE1EEfLj256ELj4ELj100EEvPKT0_PS4_S4_,"axG",@progbits,_Z6kernelI14exclusive_scanILN6hipcub18BlockScanAlgorithmE1EEfLj256ELj4ELj100EEvPKT0_PS4_S4_,comdat
.Lfunc_end140:
	.size	_Z6kernelI14exclusive_scanILN6hipcub18BlockScanAlgorithmE1EEfLj256ELj4ELj100EEvPKT0_PS4_S4_, .Lfunc_end140-_Z6kernelI14exclusive_scanILN6hipcub18BlockScanAlgorithmE1EEfLj256ELj4ELj100EEvPKT0_PS4_S4_
                                        ; -- End function
	.section	.AMDGPU.csdata,"",@progbits
; Kernel info:
; codeLenInByte = 636
; NumSgprs: 18
; NumVgprs: 20
; NumAgprs: 0
; TotalNumVgprs: 20
; ScratchSize: 0
; MemoryBound: 0
; FloatMode: 240
; IeeeMode: 1
; LDSByteSize: 1056 bytes/workgroup (compile time only)
; SGPRBlocks: 2
; VGPRBlocks: 2
; NumSGPRsForWavesPerEU: 18
; NumVGPRsForWavesPerEU: 20
; AccumOffset: 20
; Occupancy: 8
; WaveLimiterHint : 0
; COMPUTE_PGM_RSRC2:SCRATCH_EN: 0
; COMPUTE_PGM_RSRC2:USER_SGPR: 2
; COMPUTE_PGM_RSRC2:TRAP_HANDLER: 0
; COMPUTE_PGM_RSRC2:TGID_X_EN: 1
; COMPUTE_PGM_RSRC2:TGID_Y_EN: 0
; COMPUTE_PGM_RSRC2:TGID_Z_EN: 0
; COMPUTE_PGM_RSRC2:TIDIG_COMP_CNT: 0
; COMPUTE_PGM_RSRC3_GFX90A:ACCUM_OFFSET: 4
; COMPUTE_PGM_RSRC3_GFX90A:TG_SPLIT: 0
	.section	.text._Z6kernelI14exclusive_scanILN6hipcub18BlockScanAlgorithmE1EEfLj256ELj8ELj100EEvPKT0_PS4_S4_,"axG",@progbits,_Z6kernelI14exclusive_scanILN6hipcub18BlockScanAlgorithmE1EEfLj256ELj8ELj100EEvPKT0_PS4_S4_,comdat
	.protected	_Z6kernelI14exclusive_scanILN6hipcub18BlockScanAlgorithmE1EEfLj256ELj8ELj100EEvPKT0_PS4_S4_ ; -- Begin function _Z6kernelI14exclusive_scanILN6hipcub18BlockScanAlgorithmE1EEfLj256ELj8ELj100EEvPKT0_PS4_S4_
	.globl	_Z6kernelI14exclusive_scanILN6hipcub18BlockScanAlgorithmE1EEfLj256ELj8ELj100EEvPKT0_PS4_S4_
	.p2align	8
	.type	_Z6kernelI14exclusive_scanILN6hipcub18BlockScanAlgorithmE1EEfLj256ELj8ELj100EEvPKT0_PS4_S4_,@function
_Z6kernelI14exclusive_scanILN6hipcub18BlockScanAlgorithmE1EEfLj256ELj8ELj100EEvPKT0_PS4_S4_: ; @_Z6kernelI14exclusive_scanILN6hipcub18BlockScanAlgorithmE1EEfLj256ELj8ELj100EEvPKT0_PS4_S4_
; %bb.0:
	s_load_dwordx4 s[4:7], s[0:1], 0x0
	s_load_dword s3, s[0:1], 0x24
	s_load_dword s10, s[0:1], 0x10
	v_mov_b32_e32 v19, 0
	v_lshrrev_b32_e32 v1, 5, v0
	s_waitcnt lgkmcnt(0)
	v_mov_b32_e32 v2, s4
	s_and_b32 s0, s3, 0xffff
	s_mul_i32 s2, s2, s0
	v_mov_b32_e32 v3, s5
	v_add_lshl_u32 v18, s2, v0, 3
	v_lshl_add_u64 v[10:11], v[18:19], 2, v[2:3]
	global_load_dwordx4 v[6:9], v[10:11], off
	global_load_dwordx4 v[2:5], v[10:11], off offset:16
	v_add_lshl_u32 v1, v1, v0, 2
	v_cmp_gt_u32_e32 vcc, 64, v0
	v_cmp_eq_u32_e64 s[0:1], 0, v0
	v_cmp_ne_u32_e64 s[2:3], 0, v0
	v_lshlrev_b32_e32 v10, 2, v0
	v_lshrrev_b32_e32 v11, 3, v0
	v_add_u32_e32 v0, -1, v0
	v_add_lshl_u32 v17, v11, v10, 2
	v_lshrrev_b32_e32 v10, 5, v0
	v_add_lshl_u32 v0, v10, v0, 2
	v_mbcnt_lo_u32_b32 v10, -1, 0
	v_mbcnt_hi_u32_b32 v20, -1, v10
	s_movk_i32 s11, 0x64
	v_and_b32_e32 v21, 15, v20
	v_and_b32_e32 v22, 16, v20
	v_add_u32_e32 v23, -1, v20
	v_and_b32_e32 v24, 64, v20
.LBB141_1:                              ; =>This Inner Loop Header: Depth=1
	s_waitcnt vmcnt(1)
	v_add_f32_e32 v10, v6, v7
	v_add_f32_e32 v10, v8, v10
	;; [unrolled: 1-line block ×3, first 2 shown]
	s_waitcnt vmcnt(0)
	v_add_f32_e32 v10, v2, v10
	v_add_f32_e32 v10, v3, v10
	;; [unrolled: 1-line block ×4, first 2 shown]
	ds_write_b32 v1, v5
	s_waitcnt lgkmcnt(0)
	s_barrier
	s_and_saveexec_b64 s[8:9], vcc
	s_cbranch_execz .LBB141_3
; %bb.2:                                ;   in Loop: Header=BB141_1 Depth=1
	ds_read2_b32 v[10:11], v17 offset1:1
	ds_read2_b32 v[12:13], v17 offset0:2 offset1:3
	v_cmp_eq_u32_e64 s[4:5], 0, v21
	s_waitcnt lgkmcnt(1)
	v_add_f32_e32 v14, v10, v11
	s_waitcnt lgkmcnt(0)
	v_add_f32_e32 v14, v14, v12
	v_add_f32_e32 v14, v14, v13
	s_nop 1
	v_mov_b32_dpp v15, v14 row_shr:1 row_mask:0xf bank_mask:0xf
	v_add_f32_e32 v15, v14, v15
	v_cndmask_b32_e64 v14, v15, v14, s[4:5]
	v_cmp_lt_u32_e64 s[4:5], 1, v21
	s_nop 0
	v_mov_b32_dpp v15, v14 row_shr:2 row_mask:0xf bank_mask:0xf
	v_add_f32_e32 v15, v14, v15
	v_cndmask_b32_e64 v14, v14, v15, s[4:5]
	v_cmp_lt_u32_e64 s[4:5], 3, v21
	;; [unrolled: 5-line block ×3, first 2 shown]
	s_nop 0
	v_mov_b32_dpp v15, v14 row_shr:8 row_mask:0xf bank_mask:0xf
	v_add_f32_e32 v15, v14, v15
	v_cndmask_b32_e64 v14, v14, v15, s[4:5]
	v_cmp_eq_u32_e64 s[4:5], 0, v22
	s_nop 0
	v_mov_b32_dpp v15, v14 row_bcast:15 row_mask:0xf bank_mask:0xf
	v_add_f32_e32 v15, v14, v15
	v_cndmask_b32_e64 v14, v15, v14, s[4:5]
	v_cmp_lt_u32_e64 s[4:5], 31, v20
	s_nop 0
	v_mov_b32_dpp v15, v14 row_bcast:31 row_mask:0xf bank_mask:0xf
	v_add_f32_e32 v15, v14, v15
	v_cndmask_b32_e64 v14, v14, v15, s[4:5]
	v_cmp_lt_i32_e64 s[4:5], v23, v24
	s_nop 1
	v_cndmask_b32_e64 v15, v23, v20, s[4:5]
	v_lshlrev_b32_e32 v15, 2, v15
	ds_bpermute_b32 v14, v15, v14
	s_waitcnt lgkmcnt(0)
	v_add_f32_e32 v10, v10, v14
	v_cndmask_b32_e64 v5, v10, v5, s[0:1]
	v_add_f32_e32 v10, v11, v5
	ds_write2_b32 v17, v5, v10 offset1:1
	v_add_f32_e32 v5, v12, v10
	v_add_f32_e32 v10, v13, v5
	ds_write2_b32 v17, v5, v10 offset0:2 offset1:3
.LBB141_3:                              ;   in Loop: Header=BB141_1 Depth=1
	s_or_b64 exec, exec, s[8:9]
	v_mov_b32_e32 v14, s10
	s_waitcnt lgkmcnt(0)
	s_barrier
	s_and_saveexec_b64 s[4:5], s[2:3]
	s_cbranch_execz .LBB141_5
; %bb.4:                                ;   in Loop: Header=BB141_1 Depth=1
	ds_read_b32 v5, v0
	s_waitcnt lgkmcnt(0)
	v_add_f32_e32 v14, s10, v5
.LBB141_5:                              ;   in Loop: Header=BB141_1 Depth=1
	s_or_b64 exec, exec, s[4:5]
	v_add_f32_e32 v15, v6, v14
	v_add_f32_e32 v16, v7, v15
	;; [unrolled: 1-line block ×6, first 2 shown]
	s_add_i32 s11, s11, -1
	s_cmp_lg_u32 s11, 0
	v_add_f32_e32 v5, v4, v13
	s_cbranch_scc0 .LBB141_7
; %bb.6:                                ;   in Loop: Header=BB141_1 Depth=1
	v_mov_b32_e32 v6, v14
	v_mov_b32_e32 v7, v15
	;; [unrolled: 1-line block ×7, first 2 shown]
	s_branch .LBB141_1
.LBB141_7:
	v_mov_b32_e32 v0, s6
	v_mov_b32_e32 v1, s7
	v_lshl_add_u64 v[0:1], v[18:19], 2, v[0:1]
	global_store_dwordx3 v[0:1], v[14:16], off
	global_store_dwordx4 v[0:1], v[10:13], off offset:12
	global_store_dword v[0:1], v5, off offset:28
	s_endpgm
	.section	.rodata,"a",@progbits
	.p2align	6, 0x0
	.amdhsa_kernel _Z6kernelI14exclusive_scanILN6hipcub18BlockScanAlgorithmE1EEfLj256ELj8ELj100EEvPKT0_PS4_S4_
		.amdhsa_group_segment_fixed_size 1056
		.amdhsa_private_segment_fixed_size 0
		.amdhsa_kernarg_size 280
		.amdhsa_user_sgpr_count 2
		.amdhsa_user_sgpr_dispatch_ptr 0
		.amdhsa_user_sgpr_queue_ptr 0
		.amdhsa_user_sgpr_kernarg_segment_ptr 1
		.amdhsa_user_sgpr_dispatch_id 0
		.amdhsa_user_sgpr_kernarg_preload_length 0
		.amdhsa_user_sgpr_kernarg_preload_offset 0
		.amdhsa_user_sgpr_private_segment_size 0
		.amdhsa_uses_dynamic_stack 0
		.amdhsa_enable_private_segment 0
		.amdhsa_system_sgpr_workgroup_id_x 1
		.amdhsa_system_sgpr_workgroup_id_y 0
		.amdhsa_system_sgpr_workgroup_id_z 0
		.amdhsa_system_sgpr_workgroup_info 0
		.amdhsa_system_vgpr_workitem_id 0
		.amdhsa_next_free_vgpr 25
		.amdhsa_next_free_sgpr 12
		.amdhsa_accum_offset 28
		.amdhsa_reserve_vcc 1
		.amdhsa_float_round_mode_32 0
		.amdhsa_float_round_mode_16_64 0
		.amdhsa_float_denorm_mode_32 3
		.amdhsa_float_denorm_mode_16_64 3
		.amdhsa_dx10_clamp 1
		.amdhsa_ieee_mode 1
		.amdhsa_fp16_overflow 0
		.amdhsa_tg_split 0
		.amdhsa_exception_fp_ieee_invalid_op 0
		.amdhsa_exception_fp_denorm_src 0
		.amdhsa_exception_fp_ieee_div_zero 0
		.amdhsa_exception_fp_ieee_overflow 0
		.amdhsa_exception_fp_ieee_underflow 0
		.amdhsa_exception_fp_ieee_inexact 0
		.amdhsa_exception_int_div_zero 0
	.end_amdhsa_kernel
	.section	.text._Z6kernelI14exclusive_scanILN6hipcub18BlockScanAlgorithmE1EEfLj256ELj8ELj100EEvPKT0_PS4_S4_,"axG",@progbits,_Z6kernelI14exclusive_scanILN6hipcub18BlockScanAlgorithmE1EEfLj256ELj8ELj100EEvPKT0_PS4_S4_,comdat
.Lfunc_end141:
	.size	_Z6kernelI14exclusive_scanILN6hipcub18BlockScanAlgorithmE1EEfLj256ELj8ELj100EEvPKT0_PS4_S4_, .Lfunc_end141-_Z6kernelI14exclusive_scanILN6hipcub18BlockScanAlgorithmE1EEfLj256ELj8ELj100EEvPKT0_PS4_S4_
                                        ; -- End function
	.section	.AMDGPU.csdata,"",@progbits
; Kernel info:
; codeLenInByte = 708
; NumSgprs: 18
; NumVgprs: 25
; NumAgprs: 0
; TotalNumVgprs: 25
; ScratchSize: 0
; MemoryBound: 0
; FloatMode: 240
; IeeeMode: 1
; LDSByteSize: 1056 bytes/workgroup (compile time only)
; SGPRBlocks: 2
; VGPRBlocks: 3
; NumSGPRsForWavesPerEU: 18
; NumVGPRsForWavesPerEU: 25
; AccumOffset: 28
; Occupancy: 8
; WaveLimiterHint : 0
; COMPUTE_PGM_RSRC2:SCRATCH_EN: 0
; COMPUTE_PGM_RSRC2:USER_SGPR: 2
; COMPUTE_PGM_RSRC2:TRAP_HANDLER: 0
; COMPUTE_PGM_RSRC2:TGID_X_EN: 1
; COMPUTE_PGM_RSRC2:TGID_Y_EN: 0
; COMPUTE_PGM_RSRC2:TGID_Z_EN: 0
; COMPUTE_PGM_RSRC2:TIDIG_COMP_CNT: 0
; COMPUTE_PGM_RSRC3_GFX90A:ACCUM_OFFSET: 6
; COMPUTE_PGM_RSRC3_GFX90A:TG_SPLIT: 0
	.section	.text._Z6kernelI14exclusive_scanILN6hipcub18BlockScanAlgorithmE1EEfLj256ELj11ELj100EEvPKT0_PS4_S4_,"axG",@progbits,_Z6kernelI14exclusive_scanILN6hipcub18BlockScanAlgorithmE1EEfLj256ELj11ELj100EEvPKT0_PS4_S4_,comdat
	.protected	_Z6kernelI14exclusive_scanILN6hipcub18BlockScanAlgorithmE1EEfLj256ELj11ELj100EEvPKT0_PS4_S4_ ; -- Begin function _Z6kernelI14exclusive_scanILN6hipcub18BlockScanAlgorithmE1EEfLj256ELj11ELj100EEvPKT0_PS4_S4_
	.globl	_Z6kernelI14exclusive_scanILN6hipcub18BlockScanAlgorithmE1EEfLj256ELj11ELj100EEvPKT0_PS4_S4_
	.p2align	8
	.type	_Z6kernelI14exclusive_scanILN6hipcub18BlockScanAlgorithmE1EEfLj256ELj11ELj100EEvPKT0_PS4_S4_,@function
_Z6kernelI14exclusive_scanILN6hipcub18BlockScanAlgorithmE1EEfLj256ELj11ELj100EEvPKT0_PS4_S4_: ; @_Z6kernelI14exclusive_scanILN6hipcub18BlockScanAlgorithmE1EEfLj256ELj11ELj100EEvPKT0_PS4_S4_
; %bb.0:
	s_load_dword s3, s[0:1], 0x24
	s_load_dwordx4 s[4:7], s[0:1], 0x0
	s_load_dword s10, s[0:1], 0x10
	v_mov_b32_e32 v3, 0
	v_mov_b32_e32 v5, v3
	s_waitcnt lgkmcnt(0)
	s_and_b32 s0, s3, 0xffff
	s_mul_i32 s2, s2, s0
	v_add_u32_e32 v1, s2, v0
	v_mul_lo_u32 v2, v1, 11
	v_lshl_add_u64 v[18:19], v[2:3], 2, s[4:5]
	v_add_u32_e32 v4, 1, v2
	v_add_u32_e32 v6, 2, v2
	v_mov_b32_e32 v7, v3
	v_add_u32_e32 v8, 3, v2
	v_mov_b32_e32 v9, v3
	v_add_u32_e32 v10, 4, v2
	v_mov_b32_e32 v11, v3
	v_add_u32_e32 v12, 5, v2
	v_mov_b32_e32 v13, v3
	v_add_u32_e32 v14, 6, v2
	v_mov_b32_e32 v15, v3
	v_add_u32_e32 v16, 7, v2
	v_mov_b32_e32 v17, v3
	v_lshl_add_u64 v[20:21], v[4:5], 2, s[4:5]
	v_lshl_add_u64 v[22:23], v[6:7], 2, s[4:5]
	;; [unrolled: 1-line block ×7, first 2 shown]
	global_load_dword v30, v[18:19], off
	global_load_dword v29, v[20:21], off
	global_load_dword v28, v[22:23], off
	global_load_dword v27, v[32:33], off
	global_load_dword v26, v[34:35], off
	global_load_dword v25, v[36:37], off
	global_load_dword v24, v[38:39], off
	global_load_dword v1, v[40:41], off
	v_add_u32_e32 v18, 8, v2
	v_mov_b32_e32 v19, v3
	v_lshl_add_u64 v[34:35], v[18:19], 2, s[4:5]
	v_add_u32_e32 v20, 9, v2
	v_mov_b32_e32 v21, v3
	v_add_u32_e32 v22, 10, v2
	v_mov_b32_e32 v23, v3
	v_lshl_add_u64 v[36:37], v[20:21], 2, s[4:5]
	v_lshl_add_u64 v[38:39], v[22:23], 2, s[4:5]
	global_load_dword v33, v[34:35], off
	global_load_dword v31, v[36:37], off
	;; [unrolled: 1-line block ×3, first 2 shown]
	v_lshrrev_b32_e32 v32, 5, v0
	v_add_lshl_u32 v32, v32, v0, 2
	v_cmp_gt_u32_e32 vcc, 64, v0
	v_cmp_eq_u32_e64 s[0:1], 0, v0
	v_cmp_ne_u32_e64 s[2:3], 0, v0
	v_lshlrev_b32_e32 v34, 2, v0
	v_lshrrev_b32_e32 v35, 3, v0
	v_add_u32_e32 v0, -1, v0
	v_add_lshl_u32 v34, v35, v34, 2
	v_lshrrev_b32_e32 v35, 5, v0
	v_add_lshl_u32 v0, v35, v0, 2
	v_mbcnt_lo_u32_b32 v35, -1, 0
	v_mbcnt_hi_u32_b32 v35, -1, v35
	s_movk_i32 s11, 0x64
	v_and_b32_e32 v36, 15, v35
	v_and_b32_e32 v37, 16, v35
	v_add_u32_e32 v38, -1, v35
	v_and_b32_e32 v39, 64, v35
.LBB142_1:                              ; =>This Inner Loop Header: Depth=1
	s_waitcnt vmcnt(9)
	v_add_f32_e32 v41, v29, v30
	s_waitcnt vmcnt(8)
	v_add_f32_e32 v41, v28, v41
	;; [unrolled: 2-line block ×10, first 2 shown]
	ds_write_b32 v32, v40
	s_waitcnt lgkmcnt(0)
	s_barrier
	s_and_saveexec_b64 s[8:9], vcc
	s_cbranch_execz .LBB142_3
; %bb.2:                                ;   in Loop: Header=BB142_1 Depth=1
	ds_read2_b32 v[42:43], v34 offset1:1
	ds_read2_b32 v[44:45], v34 offset0:2 offset1:3
	v_cmp_eq_u32_e64 s[4:5], 0, v36
	s_waitcnt lgkmcnt(1)
	v_add_f32_e32 v41, v42, v43
	s_waitcnt lgkmcnt(0)
	v_add_f32_e32 v41, v41, v44
	v_add_f32_e32 v41, v41, v45
	s_nop 1
	v_mov_b32_dpp v46, v41 row_shr:1 row_mask:0xf bank_mask:0xf
	v_add_f32_e32 v46, v41, v46
	v_cndmask_b32_e64 v41, v46, v41, s[4:5]
	v_cmp_lt_u32_e64 s[4:5], 1, v36
	s_nop 0
	v_mov_b32_dpp v46, v41 row_shr:2 row_mask:0xf bank_mask:0xf
	v_add_f32_e32 v46, v41, v46
	v_cndmask_b32_e64 v41, v41, v46, s[4:5]
	v_cmp_lt_u32_e64 s[4:5], 3, v36
	;; [unrolled: 5-line block ×3, first 2 shown]
	s_nop 0
	v_mov_b32_dpp v46, v41 row_shr:8 row_mask:0xf bank_mask:0xf
	v_add_f32_e32 v46, v41, v46
	v_cndmask_b32_e64 v41, v41, v46, s[4:5]
	v_cmp_eq_u32_e64 s[4:5], 0, v37
	s_nop 0
	v_mov_b32_dpp v46, v41 row_bcast:15 row_mask:0xf bank_mask:0xf
	v_add_f32_e32 v46, v41, v46
	v_cndmask_b32_e64 v41, v46, v41, s[4:5]
	v_cmp_lt_u32_e64 s[4:5], 31, v35
	s_nop 0
	v_mov_b32_dpp v46, v41 row_bcast:31 row_mask:0xf bank_mask:0xf
	v_add_f32_e32 v46, v41, v46
	v_cndmask_b32_e64 v41, v41, v46, s[4:5]
	v_cmp_lt_i32_e64 s[4:5], v38, v39
	s_nop 1
	v_cndmask_b32_e64 v46, v38, v35, s[4:5]
	v_lshlrev_b32_e32 v46, 2, v46
	ds_bpermute_b32 v41, v46, v41
	s_waitcnt lgkmcnt(0)
	v_add_f32_e32 v41, v42, v41
	v_cndmask_b32_e64 v40, v41, v40, s[0:1]
	v_add_f32_e32 v41, v43, v40
	ds_write2_b32 v34, v40, v41 offset1:1
	v_add_f32_e32 v40, v44, v41
	v_add_f32_e32 v41, v45, v40
	ds_write2_b32 v34, v40, v41 offset0:2 offset1:3
.LBB142_3:                              ;   in Loop: Header=BB142_1 Depth=1
	s_or_b64 exec, exec, s[8:9]
	v_mov_b32_e32 v41, s10
	s_waitcnt lgkmcnt(0)
	s_barrier
	s_and_saveexec_b64 s[4:5], s[2:3]
	s_cbranch_execz .LBB142_5
; %bb.4:                                ;   in Loop: Header=BB142_1 Depth=1
	ds_read_b32 v40, v0
	s_waitcnt lgkmcnt(0)
	v_add_f32_e32 v41, s10, v40
.LBB142_5:                              ;   in Loop: Header=BB142_1 Depth=1
	s_or_b64 exec, exec, s[4:5]
	v_add_f32_e32 v30, v30, v41
	v_add_f32_e32 v29, v29, v30
	;; [unrolled: 1-line block ×9, first 2 shown]
	s_add_i32 s11, s11, -1
	s_cmp_lg_u32 s11, 0
	v_add_f32_e32 v40, v31, v33
	s_cbranch_scc0 .LBB142_7
; %bb.6:                                ;   in Loop: Header=BB142_1 Depth=1
	v_mov_b32_e32 v31, v33
	v_mov_b32_e32 v33, v1
	;; [unrolled: 1-line block ×10, first 2 shown]
	s_branch .LBB142_1
.LBB142_7:
	v_lshl_add_u64 v[2:3], v[2:3], 2, s[6:7]
	global_store_dword v[2:3], v41, off
	v_lshl_add_u64 v[2:3], v[4:5], 2, s[6:7]
	global_store_dword v[2:3], v30, off
	;; [unrolled: 2-line block ×11, first 2 shown]
	s_endpgm
	.section	.rodata,"a",@progbits
	.p2align	6, 0x0
	.amdhsa_kernel _Z6kernelI14exclusive_scanILN6hipcub18BlockScanAlgorithmE1EEfLj256ELj11ELj100EEvPKT0_PS4_S4_
		.amdhsa_group_segment_fixed_size 1056
		.amdhsa_private_segment_fixed_size 0
		.amdhsa_kernarg_size 280
		.amdhsa_user_sgpr_count 2
		.amdhsa_user_sgpr_dispatch_ptr 0
		.amdhsa_user_sgpr_queue_ptr 0
		.amdhsa_user_sgpr_kernarg_segment_ptr 1
		.amdhsa_user_sgpr_dispatch_id 0
		.amdhsa_user_sgpr_kernarg_preload_length 0
		.amdhsa_user_sgpr_kernarg_preload_offset 0
		.amdhsa_user_sgpr_private_segment_size 0
		.amdhsa_uses_dynamic_stack 0
		.amdhsa_enable_private_segment 0
		.amdhsa_system_sgpr_workgroup_id_x 1
		.amdhsa_system_sgpr_workgroup_id_y 0
		.amdhsa_system_sgpr_workgroup_id_z 0
		.amdhsa_system_sgpr_workgroup_info 0
		.amdhsa_system_vgpr_workitem_id 0
		.amdhsa_next_free_vgpr 47
		.amdhsa_next_free_sgpr 12
		.amdhsa_accum_offset 48
		.amdhsa_reserve_vcc 1
		.amdhsa_float_round_mode_32 0
		.amdhsa_float_round_mode_16_64 0
		.amdhsa_float_denorm_mode_32 3
		.amdhsa_float_denorm_mode_16_64 3
		.amdhsa_dx10_clamp 1
		.amdhsa_ieee_mode 1
		.amdhsa_fp16_overflow 0
		.amdhsa_tg_split 0
		.amdhsa_exception_fp_ieee_invalid_op 0
		.amdhsa_exception_fp_denorm_src 0
		.amdhsa_exception_fp_ieee_div_zero 0
		.amdhsa_exception_fp_ieee_overflow 0
		.amdhsa_exception_fp_ieee_underflow 0
		.amdhsa_exception_fp_ieee_inexact 0
		.amdhsa_exception_int_div_zero 0
	.end_amdhsa_kernel
	.section	.text._Z6kernelI14exclusive_scanILN6hipcub18BlockScanAlgorithmE1EEfLj256ELj11ELj100EEvPKT0_PS4_S4_,"axG",@progbits,_Z6kernelI14exclusive_scanILN6hipcub18BlockScanAlgorithmE1EEfLj256ELj11ELj100EEvPKT0_PS4_S4_,comdat
.Lfunc_end142:
	.size	_Z6kernelI14exclusive_scanILN6hipcub18BlockScanAlgorithmE1EEfLj256ELj11ELj100EEvPKT0_PS4_S4_, .Lfunc_end142-_Z6kernelI14exclusive_scanILN6hipcub18BlockScanAlgorithmE1EEfLj256ELj11ELj100EEvPKT0_PS4_S4_
                                        ; -- End function
	.section	.AMDGPU.csdata,"",@progbits
; Kernel info:
; codeLenInByte = 1140
; NumSgprs: 18
; NumVgprs: 47
; NumAgprs: 0
; TotalNumVgprs: 47
; ScratchSize: 0
; MemoryBound: 0
; FloatMode: 240
; IeeeMode: 1
; LDSByteSize: 1056 bytes/workgroup (compile time only)
; SGPRBlocks: 2
; VGPRBlocks: 5
; NumSGPRsForWavesPerEU: 18
; NumVGPRsForWavesPerEU: 47
; AccumOffset: 48
; Occupancy: 8
; WaveLimiterHint : 0
; COMPUTE_PGM_RSRC2:SCRATCH_EN: 0
; COMPUTE_PGM_RSRC2:USER_SGPR: 2
; COMPUTE_PGM_RSRC2:TRAP_HANDLER: 0
; COMPUTE_PGM_RSRC2:TGID_X_EN: 1
; COMPUTE_PGM_RSRC2:TGID_Y_EN: 0
; COMPUTE_PGM_RSRC2:TGID_Z_EN: 0
; COMPUTE_PGM_RSRC2:TIDIG_COMP_CNT: 0
; COMPUTE_PGM_RSRC3_GFX90A:ACCUM_OFFSET: 11
; COMPUTE_PGM_RSRC3_GFX90A:TG_SPLIT: 0
	.section	.text._Z6kernelI14exclusive_scanILN6hipcub18BlockScanAlgorithmE1EEfLj256ELj16ELj100EEvPKT0_PS4_S4_,"axG",@progbits,_Z6kernelI14exclusive_scanILN6hipcub18BlockScanAlgorithmE1EEfLj256ELj16ELj100EEvPKT0_PS4_S4_,comdat
	.protected	_Z6kernelI14exclusive_scanILN6hipcub18BlockScanAlgorithmE1EEfLj256ELj16ELj100EEvPKT0_PS4_S4_ ; -- Begin function _Z6kernelI14exclusive_scanILN6hipcub18BlockScanAlgorithmE1EEfLj256ELj16ELj100EEvPKT0_PS4_S4_
	.globl	_Z6kernelI14exclusive_scanILN6hipcub18BlockScanAlgorithmE1EEfLj256ELj16ELj100EEvPKT0_PS4_S4_
	.p2align	8
	.type	_Z6kernelI14exclusive_scanILN6hipcub18BlockScanAlgorithmE1EEfLj256ELj16ELj100EEvPKT0_PS4_S4_,@function
_Z6kernelI14exclusive_scanILN6hipcub18BlockScanAlgorithmE1EEfLj256ELj16ELj100EEvPKT0_PS4_S4_: ; @_Z6kernelI14exclusive_scanILN6hipcub18BlockScanAlgorithmE1EEfLj256ELj16ELj100EEvPKT0_PS4_S4_
; %bb.0:
	s_load_dwordx4 s[4:7], s[0:1], 0x0
	s_load_dword s3, s[0:1], 0x24
	s_load_dword s10, s[0:1], 0x10
	v_mov_b32_e32 v27, 0
	v_lshrrev_b32_e32 v1, 5, v0
	s_waitcnt lgkmcnt(0)
	v_mov_b32_e32 v2, s4
	s_and_b32 s0, s3, 0xffff
	s_mul_i32 s2, s2, s0
	v_mov_b32_e32 v3, s5
	v_add_lshl_u32 v26, s2, v0, 4
	v_lshl_add_u64 v[18:19], v[26:27], 2, v[2:3]
	global_load_dwordx4 v[2:5], v[18:19], off offset:48
	global_load_dwordx4 v[6:9], v[18:19], off offset:32
	global_load_dwordx4 v[10:13], v[18:19], off
	global_load_dwordx4 v[14:17], v[18:19], off offset:16
	v_add_lshl_u32 v28, v1, v0, 2
	v_cmp_gt_u32_e32 vcc, 64, v0
	v_cmp_eq_u32_e64 s[0:1], 0, v0
	v_cmp_ne_u32_e64 s[2:3], 0, v0
	v_lshlrev_b32_e32 v1, 2, v0
	v_lshrrev_b32_e32 v18, 3, v0
	v_add_u32_e32 v0, -1, v0
	v_add_lshl_u32 v29, v18, v1, 2
	v_lshrrev_b32_e32 v1, 5, v0
	v_add_lshl_u32 v30, v1, v0, 2
	v_mbcnt_lo_u32_b32 v0, -1, 0
	v_mbcnt_hi_u32_b32 v31, -1, v0
	s_movk_i32 s11, 0x64
	v_and_b32_e32 v32, 15, v31
	v_and_b32_e32 v33, 16, v31
	v_add_u32_e32 v34, -1, v31
	v_and_b32_e32 v35, 64, v31
.LBB143_1:                              ; =>This Inner Loop Header: Depth=1
	s_waitcnt vmcnt(1)
	v_add_f32_e32 v0, v11, v10
	v_add_f32_e32 v0, v12, v0
	;; [unrolled: 1-line block ×3, first 2 shown]
	s_waitcnt vmcnt(0)
	v_add_f32_e32 v0, v14, v0
	v_add_f32_e32 v0, v15, v0
	;; [unrolled: 1-line block ×12, first 2 shown]
	ds_write_b32 v28, v0
	s_waitcnt lgkmcnt(0)
	s_barrier
	s_and_saveexec_b64 s[8:9], vcc
	s_cbranch_execz .LBB143_3
; %bb.2:                                ;   in Loop: Header=BB143_1 Depth=1
	ds_read2_b32 v[18:19], v29 offset1:1
	ds_read2_b32 v[20:21], v29 offset0:2 offset1:3
	v_cmp_eq_u32_e64 s[4:5], 0, v32
	s_waitcnt lgkmcnt(1)
	v_add_f32_e32 v1, v18, v19
	s_waitcnt lgkmcnt(0)
	v_add_f32_e32 v1, v1, v20
	v_add_f32_e32 v1, v1, v21
	s_nop 1
	v_mov_b32_dpp v5, v1 row_shr:1 row_mask:0xf bank_mask:0xf
	v_add_f32_e32 v5, v1, v5
	v_cndmask_b32_e64 v1, v5, v1, s[4:5]
	v_cmp_lt_u32_e64 s[4:5], 1, v32
	s_nop 0
	v_mov_b32_dpp v5, v1 row_shr:2 row_mask:0xf bank_mask:0xf
	v_add_f32_e32 v5, v1, v5
	v_cndmask_b32_e64 v1, v1, v5, s[4:5]
	v_cmp_lt_u32_e64 s[4:5], 3, v32
	;; [unrolled: 5-line block ×3, first 2 shown]
	s_nop 0
	v_mov_b32_dpp v5, v1 row_shr:8 row_mask:0xf bank_mask:0xf
	v_add_f32_e32 v5, v1, v5
	v_cndmask_b32_e64 v1, v1, v5, s[4:5]
	v_cmp_eq_u32_e64 s[4:5], 0, v33
	s_nop 0
	v_mov_b32_dpp v5, v1 row_bcast:15 row_mask:0xf bank_mask:0xf
	v_add_f32_e32 v5, v1, v5
	v_cndmask_b32_e64 v1, v5, v1, s[4:5]
	v_cmp_lt_u32_e64 s[4:5], 31, v31
	s_nop 0
	v_mov_b32_dpp v5, v1 row_bcast:31 row_mask:0xf bank_mask:0xf
	v_add_f32_e32 v5, v1, v5
	v_cndmask_b32_e64 v1, v1, v5, s[4:5]
	v_cmp_lt_i32_e64 s[4:5], v34, v35
	s_nop 1
	v_cndmask_b32_e64 v5, v34, v31, s[4:5]
	v_lshlrev_b32_e32 v5, 2, v5
	ds_bpermute_b32 v1, v5, v1
	s_waitcnt lgkmcnt(0)
	v_add_f32_e32 v1, v18, v1
	v_cndmask_b32_e64 v0, v1, v0, s[0:1]
	v_add_f32_e32 v1, v19, v0
	ds_write2_b32 v29, v0, v1 offset1:1
	v_add_f32_e32 v0, v20, v1
	v_add_f32_e32 v1, v21, v0
	ds_write2_b32 v29, v0, v1 offset0:2 offset1:3
.LBB143_3:                              ;   in Loop: Header=BB143_1 Depth=1
	s_or_b64 exec, exec, s[8:9]
	v_mov_b32_e32 v18, s10
	s_waitcnt lgkmcnt(0)
	s_barrier
	s_and_saveexec_b64 s[4:5], s[2:3]
	s_cbranch_execz .LBB143_5
; %bb.4:                                ;   in Loop: Header=BB143_1 Depth=1
	ds_read_b32 v0, v30
	s_waitcnt lgkmcnt(0)
	v_add_f32_e32 v18, s10, v0
.LBB143_5:                              ;   in Loop: Header=BB143_1 Depth=1
	s_or_b64 exec, exec, s[4:5]
	v_add_f32_e32 v19, v10, v18
	v_add_f32_e32 v20, v11, v19
	;; [unrolled: 1-line block ×14, first 2 shown]
	s_add_i32 s11, s11, -1
	s_cmp_lg_u32 s11, 0
	v_add_f32_e32 v5, v4, v2
	s_cbranch_scc0 .LBB143_7
; %bb.6:                                ;   in Loop: Header=BB143_1 Depth=1
	v_mov_b32_e32 v11, v19
	v_mov_b32_e32 v10, v18
	;; [unrolled: 1-line block ×15, first 2 shown]
	s_branch .LBB143_1
.LBB143_7:
	v_mov_b32_e32 v6, s6
	v_mov_b32_e32 v7, s7
	v_lshl_add_u64 v[6:7], v[26:27], 2, v[6:7]
	v_mov_b32_e32 v3, v5
	global_store_dwordx4 v[6:7], v[18:21], off
	global_store_dwordx4 v[6:7], v[12:15], off offset:16
	global_store_dwordx4 v[6:7], v[22:25], off offset:32
	;; [unrolled: 1-line block ×3, first 2 shown]
	s_endpgm
	.section	.rodata,"a",@progbits
	.p2align	6, 0x0
	.amdhsa_kernel _Z6kernelI14exclusive_scanILN6hipcub18BlockScanAlgorithmE1EEfLj256ELj16ELj100EEvPKT0_PS4_S4_
		.amdhsa_group_segment_fixed_size 1056
		.amdhsa_private_segment_fixed_size 0
		.amdhsa_kernarg_size 280
		.amdhsa_user_sgpr_count 2
		.amdhsa_user_sgpr_dispatch_ptr 0
		.amdhsa_user_sgpr_queue_ptr 0
		.amdhsa_user_sgpr_kernarg_segment_ptr 1
		.amdhsa_user_sgpr_dispatch_id 0
		.amdhsa_user_sgpr_kernarg_preload_length 0
		.amdhsa_user_sgpr_kernarg_preload_offset 0
		.amdhsa_user_sgpr_private_segment_size 0
		.amdhsa_uses_dynamic_stack 0
		.amdhsa_enable_private_segment 0
		.amdhsa_system_sgpr_workgroup_id_x 1
		.amdhsa_system_sgpr_workgroup_id_y 0
		.amdhsa_system_sgpr_workgroup_id_z 0
		.amdhsa_system_sgpr_workgroup_info 0
		.amdhsa_system_vgpr_workitem_id 0
		.amdhsa_next_free_vgpr 36
		.amdhsa_next_free_sgpr 12
		.amdhsa_accum_offset 36
		.amdhsa_reserve_vcc 1
		.amdhsa_float_round_mode_32 0
		.amdhsa_float_round_mode_16_64 0
		.amdhsa_float_denorm_mode_32 3
		.amdhsa_float_denorm_mode_16_64 3
		.amdhsa_dx10_clamp 1
		.amdhsa_ieee_mode 1
		.amdhsa_fp16_overflow 0
		.amdhsa_tg_split 0
		.amdhsa_exception_fp_ieee_invalid_op 0
		.amdhsa_exception_fp_denorm_src 0
		.amdhsa_exception_fp_ieee_div_zero 0
		.amdhsa_exception_fp_ieee_overflow 0
		.amdhsa_exception_fp_ieee_underflow 0
		.amdhsa_exception_fp_ieee_inexact 0
		.amdhsa_exception_int_div_zero 0
	.end_amdhsa_kernel
	.section	.text._Z6kernelI14exclusive_scanILN6hipcub18BlockScanAlgorithmE1EEfLj256ELj16ELj100EEvPKT0_PS4_S4_,"axG",@progbits,_Z6kernelI14exclusive_scanILN6hipcub18BlockScanAlgorithmE1EEfLj256ELj16ELj100EEvPKT0_PS4_S4_,comdat
.Lfunc_end143:
	.size	_Z6kernelI14exclusive_scanILN6hipcub18BlockScanAlgorithmE1EEfLj256ELj16ELj100EEvPKT0_PS4_S4_, .Lfunc_end143-_Z6kernelI14exclusive_scanILN6hipcub18BlockScanAlgorithmE1EEfLj256ELj16ELj100EEvPKT0_PS4_S4_
                                        ; -- End function
	.section	.AMDGPU.csdata,"",@progbits
; Kernel info:
; codeLenInByte = 832
; NumSgprs: 18
; NumVgprs: 36
; NumAgprs: 0
; TotalNumVgprs: 36
; ScratchSize: 0
; MemoryBound: 0
; FloatMode: 240
; IeeeMode: 1
; LDSByteSize: 1056 bytes/workgroup (compile time only)
; SGPRBlocks: 2
; VGPRBlocks: 4
; NumSGPRsForWavesPerEU: 18
; NumVGPRsForWavesPerEU: 36
; AccumOffset: 36
; Occupancy: 8
; WaveLimiterHint : 0
; COMPUTE_PGM_RSRC2:SCRATCH_EN: 0
; COMPUTE_PGM_RSRC2:USER_SGPR: 2
; COMPUTE_PGM_RSRC2:TRAP_HANDLER: 0
; COMPUTE_PGM_RSRC2:TGID_X_EN: 1
; COMPUTE_PGM_RSRC2:TGID_Y_EN: 0
; COMPUTE_PGM_RSRC2:TGID_Z_EN: 0
; COMPUTE_PGM_RSRC2:TIDIG_COMP_CNT: 0
; COMPUTE_PGM_RSRC3_GFX90A:ACCUM_OFFSET: 8
; COMPUTE_PGM_RSRC3_GFX90A:TG_SPLIT: 0
	.section	.text._Z6kernelI14exclusive_scanILN6hipcub18BlockScanAlgorithmE1EEdLj256ELj1ELj100EEvPKT0_PS4_S4_,"axG",@progbits,_Z6kernelI14exclusive_scanILN6hipcub18BlockScanAlgorithmE1EEdLj256ELj1ELj100EEvPKT0_PS4_S4_,comdat
	.protected	_Z6kernelI14exclusive_scanILN6hipcub18BlockScanAlgorithmE1EEdLj256ELj1ELj100EEvPKT0_PS4_S4_ ; -- Begin function _Z6kernelI14exclusive_scanILN6hipcub18BlockScanAlgorithmE1EEdLj256ELj1ELj100EEvPKT0_PS4_S4_
	.globl	_Z6kernelI14exclusive_scanILN6hipcub18BlockScanAlgorithmE1EEdLj256ELj1ELj100EEvPKT0_PS4_S4_
	.p2align	8
	.type	_Z6kernelI14exclusive_scanILN6hipcub18BlockScanAlgorithmE1EEdLj256ELj1ELj100EEvPKT0_PS4_S4_,@function
_Z6kernelI14exclusive_scanILN6hipcub18BlockScanAlgorithmE1EEdLj256ELj1ELj100EEvPKT0_PS4_S4_: ; @_Z6kernelI14exclusive_scanILN6hipcub18BlockScanAlgorithmE1EEdLj256ELj1ELj100EEvPKT0_PS4_S4_
; %bb.0:
	s_load_dwordx4 s[4:7], s[0:1], 0x0
	s_load_dword s3, s[0:1], 0x24
	s_load_dwordx2 s[8:9], s[0:1], 0x10
	v_mov_b32_e32 v3, 0
	v_lshrrev_b32_e32 v1, 5, v0
	s_waitcnt lgkmcnt(0)
	v_mov_b32_e32 v4, s4
	s_and_b32 s0, s3, 0xffff
	s_mul_i32 s2, s2, s0
	v_mov_b32_e32 v5, s5
	v_add_u32_e32 v2, s2, v0
	v_lshl_add_u64 v[4:5], v[2:3], 3, v[4:5]
	global_load_dwordx2 v[4:5], v[4:5], off
	v_add_lshl_u32 v1, v1, v0, 3
	v_cmp_gt_u32_e32 vcc, 64, v0
	v_cmp_eq_u32_e64 s[0:1], 0, v0
	v_cmp_ne_u32_e64 s[2:3], 0, v0
	v_lshlrev_b32_e32 v6, 2, v0
	v_lshrrev_b32_e32 v7, 3, v0
	v_add_u32_e32 v0, -1, v0
	v_add_lshl_u32 v6, v7, v6, 3
	v_lshrrev_b32_e32 v7, 5, v0
	v_add_lshl_u32 v0, v7, v0, 3
	v_mbcnt_lo_u32_b32 v7, -1, 0
	v_mbcnt_hi_u32_b32 v7, -1, v7
	s_movk_i32 s12, 0x64
	v_and_b32_e32 v8, 15, v7
	v_and_b32_e32 v9, 16, v7
	v_add_u32_e32 v10, -1, v7
	v_and_b32_e32 v11, 64, v7
	s_branch .LBB144_2
.LBB144_1:                              ;   in Loop: Header=BB144_2 Depth=1
	s_or_b64 exec, exec, s[4:5]
	s_add_i32 s12, s12, -1
	s_cmp_lg_u32 s12, 0
	s_cbranch_scc0 .LBB144_6
.LBB144_2:                              ; =>This Inner Loop Header: Depth=1
	s_waitcnt vmcnt(0)
	ds_write_b64 v1, v[4:5]
	s_waitcnt lgkmcnt(0)
	s_barrier
	s_and_saveexec_b64 s[10:11], vcc
	s_cbranch_execz .LBB144_4
; %bb.3:                                ;   in Loop: Header=BB144_2 Depth=1
	ds_read2_b64 v[12:15], v6 offset1:1
	ds_read2_b64 v[16:19], v6 offset0:2 offset1:3
	v_cmp_eq_u32_e64 s[4:5], 0, v8
	s_waitcnt lgkmcnt(1)
	v_add_f64 v[20:21], v[12:13], v[14:15]
	s_waitcnt lgkmcnt(0)
	v_add_f64 v[20:21], v[20:21], v[16:17]
	v_add_f64 v[20:21], v[20:21], v[18:19]
	s_nop 1
	v_mov_b32_dpp v22, v20 row_shr:1 row_mask:0xf bank_mask:0xf
	v_mov_b32_dpp v23, v21 row_shr:1 row_mask:0xf bank_mask:0xf
	v_add_f64 v[22:23], v[20:21], v[22:23]
	v_cndmask_b32_e64 v21, v23, v21, s[4:5]
	v_cndmask_b32_e64 v20, v22, v20, s[4:5]
	v_cmp_lt_u32_e64 s[4:5], 1, v8
	v_mov_b32_dpp v23, v21 row_shr:2 row_mask:0xf bank_mask:0xf
	v_mov_b32_dpp v22, v20 row_shr:2 row_mask:0xf bank_mask:0xf
	v_add_f64 v[22:23], v[20:21], v[22:23]
	v_cndmask_b32_e64 v20, v20, v22, s[4:5]
	v_cndmask_b32_e64 v21, v21, v23, s[4:5]
	v_cmp_lt_u32_e64 s[4:5], 3, v8
	;; [unrolled: 6-line block ×3, first 2 shown]
	v_mov_b32_dpp v22, v20 row_shr:8 row_mask:0xf bank_mask:0xf
	v_mov_b32_dpp v23, v21 row_shr:8 row_mask:0xf bank_mask:0xf
	v_add_f64 v[22:23], v[20:21], v[22:23]
	v_cndmask_b32_e64 v20, v20, v22, s[4:5]
	v_cndmask_b32_e64 v21, v21, v23, s[4:5]
	v_cmp_eq_u32_e64 s[4:5], 0, v9
	v_mov_b32_dpp v22, v20 row_bcast:15 row_mask:0xf bank_mask:0xf
	v_mov_b32_dpp v23, v21 row_bcast:15 row_mask:0xf bank_mask:0xf
	v_add_f64 v[22:23], v[20:21], v[22:23]
	v_cndmask_b32_e64 v21, v23, v21, s[4:5]
	v_cndmask_b32_e64 v20, v22, v20, s[4:5]
	v_cmp_lt_u32_e64 s[4:5], 31, v7
	v_mov_b32_dpp v23, v21 row_bcast:31 row_mask:0xf bank_mask:0xf
	v_mov_b32_dpp v22, v20 row_bcast:31 row_mask:0xf bank_mask:0xf
	v_add_f64 v[22:23], v[20:21], v[22:23]
	v_cndmask_b32_e64 v21, v21, v23, s[4:5]
	v_cndmask_b32_e64 v20, v20, v22, s[4:5]
	v_cmp_lt_i32_e64 s[4:5], v10, v11
	s_nop 1
	v_cndmask_b32_e64 v22, v10, v7, s[4:5]
	v_lshlrev_b32_e32 v22, 2, v22
	ds_bpermute_b32 v20, v22, v20
	ds_bpermute_b32 v21, v22, v21
	s_waitcnt lgkmcnt(0)
	v_add_f64 v[12:13], v[12:13], v[20:21]
	v_cndmask_b32_e64 v5, v13, v5, s[0:1]
	v_cndmask_b32_e64 v4, v12, v4, s[0:1]
	v_add_f64 v[12:13], v[14:15], v[4:5]
	ds_write2_b64 v6, v[4:5], v[12:13] offset1:1
	v_add_f64 v[4:5], v[16:17], v[12:13]
	v_add_f64 v[12:13], v[18:19], v[4:5]
	ds_write2_b64 v6, v[4:5], v[12:13] offset0:2 offset1:3
.LBB144_4:                              ;   in Loop: Header=BB144_2 Depth=1
	s_or_b64 exec, exec, s[10:11]
	v_mov_b64_e32 v[4:5], s[8:9]
	s_waitcnt lgkmcnt(0)
	s_barrier
	s_and_saveexec_b64 s[4:5], s[2:3]
	s_cbranch_execz .LBB144_1
; %bb.5:                                ;   in Loop: Header=BB144_2 Depth=1
	ds_read_b64 v[4:5], v0
	s_waitcnt lgkmcnt(0)
	v_add_f64 v[4:5], v[4:5], s[8:9]
	s_branch .LBB144_1
.LBB144_6:
	v_mov_b32_e32 v0, s6
	v_mov_b32_e32 v1, s7
	v_lshl_add_u64 v[0:1], v[2:3], 3, v[0:1]
	global_store_dwordx2 v[0:1], v[4:5], off
	s_endpgm
	.section	.rodata,"a",@progbits
	.p2align	6, 0x0
	.amdhsa_kernel _Z6kernelI14exclusive_scanILN6hipcub18BlockScanAlgorithmE1EEdLj256ELj1ELj100EEvPKT0_PS4_S4_
		.amdhsa_group_segment_fixed_size 2112
		.amdhsa_private_segment_fixed_size 0
		.amdhsa_kernarg_size 280
		.amdhsa_user_sgpr_count 2
		.amdhsa_user_sgpr_dispatch_ptr 0
		.amdhsa_user_sgpr_queue_ptr 0
		.amdhsa_user_sgpr_kernarg_segment_ptr 1
		.amdhsa_user_sgpr_dispatch_id 0
		.amdhsa_user_sgpr_kernarg_preload_length 0
		.amdhsa_user_sgpr_kernarg_preload_offset 0
		.amdhsa_user_sgpr_private_segment_size 0
		.amdhsa_uses_dynamic_stack 0
		.amdhsa_enable_private_segment 0
		.amdhsa_system_sgpr_workgroup_id_x 1
		.amdhsa_system_sgpr_workgroup_id_y 0
		.amdhsa_system_sgpr_workgroup_id_z 0
		.amdhsa_system_sgpr_workgroup_info 0
		.amdhsa_system_vgpr_workitem_id 0
		.amdhsa_next_free_vgpr 24
		.amdhsa_next_free_sgpr 13
		.amdhsa_accum_offset 24
		.amdhsa_reserve_vcc 1
		.amdhsa_float_round_mode_32 0
		.amdhsa_float_round_mode_16_64 0
		.amdhsa_float_denorm_mode_32 3
		.amdhsa_float_denorm_mode_16_64 3
		.amdhsa_dx10_clamp 1
		.amdhsa_ieee_mode 1
		.amdhsa_fp16_overflow 0
		.amdhsa_tg_split 0
		.amdhsa_exception_fp_ieee_invalid_op 0
		.amdhsa_exception_fp_denorm_src 0
		.amdhsa_exception_fp_ieee_div_zero 0
		.amdhsa_exception_fp_ieee_overflow 0
		.amdhsa_exception_fp_ieee_underflow 0
		.amdhsa_exception_fp_ieee_inexact 0
		.amdhsa_exception_int_div_zero 0
	.end_amdhsa_kernel
	.section	.text._Z6kernelI14exclusive_scanILN6hipcub18BlockScanAlgorithmE1EEdLj256ELj1ELj100EEvPKT0_PS4_S4_,"axG",@progbits,_Z6kernelI14exclusive_scanILN6hipcub18BlockScanAlgorithmE1EEdLj256ELj1ELj100EEvPKT0_PS4_S4_,comdat
.Lfunc_end144:
	.size	_Z6kernelI14exclusive_scanILN6hipcub18BlockScanAlgorithmE1EEdLj256ELj1ELj100EEvPKT0_PS4_S4_, .Lfunc_end144-_Z6kernelI14exclusive_scanILN6hipcub18BlockScanAlgorithmE1EEdLj256ELj1ELj100EEvPKT0_PS4_S4_
                                        ; -- End function
	.section	.AMDGPU.csdata,"",@progbits
; Kernel info:
; codeLenInByte = 744
; NumSgprs: 19
; NumVgprs: 24
; NumAgprs: 0
; TotalNumVgprs: 24
; ScratchSize: 0
; MemoryBound: 0
; FloatMode: 240
; IeeeMode: 1
; LDSByteSize: 2112 bytes/workgroup (compile time only)
; SGPRBlocks: 2
; VGPRBlocks: 2
; NumSGPRsForWavesPerEU: 19
; NumVGPRsForWavesPerEU: 24
; AccumOffset: 24
; Occupancy: 8
; WaveLimiterHint : 0
; COMPUTE_PGM_RSRC2:SCRATCH_EN: 0
; COMPUTE_PGM_RSRC2:USER_SGPR: 2
; COMPUTE_PGM_RSRC2:TRAP_HANDLER: 0
; COMPUTE_PGM_RSRC2:TGID_X_EN: 1
; COMPUTE_PGM_RSRC2:TGID_Y_EN: 0
; COMPUTE_PGM_RSRC2:TGID_Z_EN: 0
; COMPUTE_PGM_RSRC2:TIDIG_COMP_CNT: 0
; COMPUTE_PGM_RSRC3_GFX90A:ACCUM_OFFSET: 5
; COMPUTE_PGM_RSRC3_GFX90A:TG_SPLIT: 0
	.section	.text._Z6kernelI14exclusive_scanILN6hipcub18BlockScanAlgorithmE1EEdLj256ELj3ELj100EEvPKT0_PS4_S4_,"axG",@progbits,_Z6kernelI14exclusive_scanILN6hipcub18BlockScanAlgorithmE1EEdLj256ELj3ELj100EEvPKT0_PS4_S4_,comdat
	.protected	_Z6kernelI14exclusive_scanILN6hipcub18BlockScanAlgorithmE1EEdLj256ELj3ELj100EEvPKT0_PS4_S4_ ; -- Begin function _Z6kernelI14exclusive_scanILN6hipcub18BlockScanAlgorithmE1EEdLj256ELj3ELj100EEvPKT0_PS4_S4_
	.globl	_Z6kernelI14exclusive_scanILN6hipcub18BlockScanAlgorithmE1EEdLj256ELj3ELj100EEvPKT0_PS4_S4_
	.p2align	8
	.type	_Z6kernelI14exclusive_scanILN6hipcub18BlockScanAlgorithmE1EEdLj256ELj3ELj100EEvPKT0_PS4_S4_,@function
_Z6kernelI14exclusive_scanILN6hipcub18BlockScanAlgorithmE1EEdLj256ELj3ELj100EEvPKT0_PS4_S4_: ; @_Z6kernelI14exclusive_scanILN6hipcub18BlockScanAlgorithmE1EEdLj256ELj3ELj100EEvPKT0_PS4_S4_
; %bb.0:
	s_load_dword s3, s[0:1], 0x24
	s_load_dwordx4 s[4:7], s[0:1], 0x0
	s_load_dwordx2 s[8:9], s[0:1], 0x10
	v_mov_b32_e32 v3, 0
	v_mov_b32_e32 v5, v3
	s_waitcnt lgkmcnt(0)
	s_and_b32 s0, s3, 0xffff
	s_mul_i32 s2, s2, s0
	v_add_u32_e32 v1, s2, v0
	v_lshl_add_u32 v2, v1, 1, v1
	v_lshl_add_u64 v[14:15], v[2:3], 3, s[4:5]
	v_add_u32_e32 v4, 1, v2
	v_add_u32_e32 v6, 2, v2
	v_mov_b32_e32 v7, v3
	v_lshl_add_u64 v[16:17], v[4:5], 3, s[4:5]
	v_lshl_add_u64 v[18:19], v[6:7], 3, s[4:5]
	global_load_dwordx2 v[10:11], v[14:15], off
	global_load_dwordx2 v[8:9], v[16:17], off
	;; [unrolled: 1-line block ×3, first 2 shown]
	v_lshrrev_b32_e32 v1, 5, v0
	v_add_lshl_u32 v16, v1, v0, 3
	v_cmp_gt_u32_e32 vcc, 64, v0
	v_cmp_eq_u32_e64 s[0:1], 0, v0
	v_cmp_ne_u32_e64 s[2:3], 0, v0
	v_lshlrev_b32_e32 v1, 2, v0
	v_lshrrev_b32_e32 v14, 3, v0
	v_add_u32_e32 v0, -1, v0
	v_add_lshl_u32 v17, v14, v1, 3
	v_lshrrev_b32_e32 v1, 5, v0
	v_add_lshl_u32 v18, v1, v0, 3
	v_mbcnt_lo_u32_b32 v0, -1, 0
	v_mbcnt_hi_u32_b32 v19, -1, v0
	s_movk_i32 s12, 0x64
	v_and_b32_e32 v20, 15, v19
	v_and_b32_e32 v21, 16, v19
	v_add_u32_e32 v22, -1, v19
	v_and_b32_e32 v23, 64, v19
.LBB145_1:                              ; =>This Inner Loop Header: Depth=1
	s_waitcnt vmcnt(1)
	v_add_f64 v[0:1], v[10:11], v[8:9]
	s_waitcnt vmcnt(0)
	v_add_f64 v[0:1], v[12:13], v[0:1]
	ds_write_b64 v16, v[0:1]
	s_waitcnt lgkmcnt(0)
	s_barrier
	s_and_saveexec_b64 s[10:11], vcc
	s_cbranch_execz .LBB145_3
; %bb.2:                                ;   in Loop: Header=BB145_1 Depth=1
	ds_read2_b64 v[12:15], v17 offset1:1
	ds_read2_b64 v[24:27], v17 offset0:2 offset1:3
	v_cmp_eq_u32_e64 s[4:5], 0, v20
	s_waitcnt lgkmcnt(1)
	v_add_f64 v[28:29], v[12:13], v[14:15]
	s_waitcnt lgkmcnt(0)
	v_add_f64 v[28:29], v[28:29], v[24:25]
	v_add_f64 v[28:29], v[28:29], v[26:27]
	s_nop 1
	v_mov_b32_dpp v30, v28 row_shr:1 row_mask:0xf bank_mask:0xf
	v_mov_b32_dpp v31, v29 row_shr:1 row_mask:0xf bank_mask:0xf
	v_add_f64 v[30:31], v[28:29], v[30:31]
	v_cndmask_b32_e64 v29, v31, v29, s[4:5]
	v_cndmask_b32_e64 v28, v30, v28, s[4:5]
	v_cmp_lt_u32_e64 s[4:5], 1, v20
	v_mov_b32_dpp v31, v29 row_shr:2 row_mask:0xf bank_mask:0xf
	v_mov_b32_dpp v30, v28 row_shr:2 row_mask:0xf bank_mask:0xf
	v_add_f64 v[30:31], v[28:29], v[30:31]
	v_cndmask_b32_e64 v28, v28, v30, s[4:5]
	v_cndmask_b32_e64 v29, v29, v31, s[4:5]
	v_cmp_lt_u32_e64 s[4:5], 3, v20
	;; [unrolled: 6-line block ×3, first 2 shown]
	v_mov_b32_dpp v30, v28 row_shr:8 row_mask:0xf bank_mask:0xf
	v_mov_b32_dpp v31, v29 row_shr:8 row_mask:0xf bank_mask:0xf
	v_add_f64 v[30:31], v[28:29], v[30:31]
	v_cndmask_b32_e64 v28, v28, v30, s[4:5]
	v_cndmask_b32_e64 v29, v29, v31, s[4:5]
	v_cmp_eq_u32_e64 s[4:5], 0, v21
	v_mov_b32_dpp v30, v28 row_bcast:15 row_mask:0xf bank_mask:0xf
	v_mov_b32_dpp v31, v29 row_bcast:15 row_mask:0xf bank_mask:0xf
	v_add_f64 v[30:31], v[28:29], v[30:31]
	v_cndmask_b32_e64 v29, v31, v29, s[4:5]
	v_cndmask_b32_e64 v28, v30, v28, s[4:5]
	v_cmp_lt_u32_e64 s[4:5], 31, v19
	v_mov_b32_dpp v31, v29 row_bcast:31 row_mask:0xf bank_mask:0xf
	v_mov_b32_dpp v30, v28 row_bcast:31 row_mask:0xf bank_mask:0xf
	v_add_f64 v[30:31], v[28:29], v[30:31]
	v_cndmask_b32_e64 v29, v29, v31, s[4:5]
	v_cndmask_b32_e64 v28, v28, v30, s[4:5]
	v_cmp_lt_i32_e64 s[4:5], v22, v23
	s_nop 1
	v_cndmask_b32_e64 v30, v22, v19, s[4:5]
	v_lshlrev_b32_e32 v30, 2, v30
	ds_bpermute_b32 v28, v30, v28
	ds_bpermute_b32 v29, v30, v29
	s_waitcnt lgkmcnt(0)
	v_add_f64 v[12:13], v[12:13], v[28:29]
	v_cndmask_b32_e64 v1, v13, v1, s[0:1]
	v_cndmask_b32_e64 v0, v12, v0, s[0:1]
	v_add_f64 v[12:13], v[14:15], v[0:1]
	ds_write2_b64 v17, v[0:1], v[12:13] offset1:1
	v_add_f64 v[0:1], v[24:25], v[12:13]
	v_add_f64 v[12:13], v[26:27], v[0:1]
	ds_write2_b64 v17, v[0:1], v[12:13] offset0:2 offset1:3
.LBB145_3:                              ;   in Loop: Header=BB145_1 Depth=1
	s_or_b64 exec, exec, s[10:11]
	v_mov_b64_e32 v[0:1], s[8:9]
	s_waitcnt lgkmcnt(0)
	s_barrier
	s_and_saveexec_b64 s[4:5], s[2:3]
	s_cbranch_execz .LBB145_5
; %bb.4:                                ;   in Loop: Header=BB145_1 Depth=1
	ds_read_b64 v[0:1], v18
	s_waitcnt lgkmcnt(0)
	v_add_f64 v[0:1], v[0:1], s[8:9]
.LBB145_5:                              ;   in Loop: Header=BB145_1 Depth=1
	s_or_b64 exec, exec, s[4:5]
	v_add_f64 v[14:15], v[10:11], v[0:1]
	s_add_i32 s12, s12, -1
	s_cmp_lg_u32 s12, 0
	v_add_f64 v[12:13], v[8:9], v[14:15]
	s_cbranch_scc0 .LBB145_7
; %bb.6:                                ;   in Loop: Header=BB145_1 Depth=1
	v_mov_b64_e32 v[10:11], v[0:1]
	v_mov_b64_e32 v[8:9], v[14:15]
	s_branch .LBB145_1
.LBB145_7:
	v_lshl_add_u64 v[2:3], v[2:3], 3, s[6:7]
	global_store_dwordx2 v[2:3], v[0:1], off
	v_lshl_add_u64 v[0:1], v[4:5], 3, s[6:7]
	global_store_dwordx2 v[0:1], v[14:15], off
	;; [unrolled: 2-line block ×3, first 2 shown]
	s_endpgm
	.section	.rodata,"a",@progbits
	.p2align	6, 0x0
	.amdhsa_kernel _Z6kernelI14exclusive_scanILN6hipcub18BlockScanAlgorithmE1EEdLj256ELj3ELj100EEvPKT0_PS4_S4_
		.amdhsa_group_segment_fixed_size 2112
		.amdhsa_private_segment_fixed_size 0
		.amdhsa_kernarg_size 280
		.amdhsa_user_sgpr_count 2
		.amdhsa_user_sgpr_dispatch_ptr 0
		.amdhsa_user_sgpr_queue_ptr 0
		.amdhsa_user_sgpr_kernarg_segment_ptr 1
		.amdhsa_user_sgpr_dispatch_id 0
		.amdhsa_user_sgpr_kernarg_preload_length 0
		.amdhsa_user_sgpr_kernarg_preload_offset 0
		.amdhsa_user_sgpr_private_segment_size 0
		.amdhsa_uses_dynamic_stack 0
		.amdhsa_enable_private_segment 0
		.amdhsa_system_sgpr_workgroup_id_x 1
		.amdhsa_system_sgpr_workgroup_id_y 0
		.amdhsa_system_sgpr_workgroup_id_z 0
		.amdhsa_system_sgpr_workgroup_info 0
		.amdhsa_system_vgpr_workitem_id 0
		.amdhsa_next_free_vgpr 32
		.amdhsa_next_free_sgpr 13
		.amdhsa_accum_offset 32
		.amdhsa_reserve_vcc 1
		.amdhsa_float_round_mode_32 0
		.amdhsa_float_round_mode_16_64 0
		.amdhsa_float_denorm_mode_32 3
		.amdhsa_float_denorm_mode_16_64 3
		.amdhsa_dx10_clamp 1
		.amdhsa_ieee_mode 1
		.amdhsa_fp16_overflow 0
		.amdhsa_tg_split 0
		.amdhsa_exception_fp_ieee_invalid_op 0
		.amdhsa_exception_fp_denorm_src 0
		.amdhsa_exception_fp_ieee_div_zero 0
		.amdhsa_exception_fp_ieee_overflow 0
		.amdhsa_exception_fp_ieee_underflow 0
		.amdhsa_exception_fp_ieee_inexact 0
		.amdhsa_exception_int_div_zero 0
	.end_amdhsa_kernel
	.section	.text._Z6kernelI14exclusive_scanILN6hipcub18BlockScanAlgorithmE1EEdLj256ELj3ELj100EEvPKT0_PS4_S4_,"axG",@progbits,_Z6kernelI14exclusive_scanILN6hipcub18BlockScanAlgorithmE1EEdLj256ELj3ELj100EEvPKT0_PS4_S4_,comdat
.Lfunc_end145:
	.size	_Z6kernelI14exclusive_scanILN6hipcub18BlockScanAlgorithmE1EEdLj256ELj3ELj100EEvPKT0_PS4_S4_, .Lfunc_end145-_Z6kernelI14exclusive_scanILN6hipcub18BlockScanAlgorithmE1EEdLj256ELj3ELj100EEvPKT0_PS4_S4_
                                        ; -- End function
	.section	.AMDGPU.csdata,"",@progbits
; Kernel info:
; codeLenInByte = 856
; NumSgprs: 19
; NumVgprs: 32
; NumAgprs: 0
; TotalNumVgprs: 32
; ScratchSize: 0
; MemoryBound: 0
; FloatMode: 240
; IeeeMode: 1
; LDSByteSize: 2112 bytes/workgroup (compile time only)
; SGPRBlocks: 2
; VGPRBlocks: 3
; NumSGPRsForWavesPerEU: 19
; NumVGPRsForWavesPerEU: 32
; AccumOffset: 32
; Occupancy: 8
; WaveLimiterHint : 0
; COMPUTE_PGM_RSRC2:SCRATCH_EN: 0
; COMPUTE_PGM_RSRC2:USER_SGPR: 2
; COMPUTE_PGM_RSRC2:TRAP_HANDLER: 0
; COMPUTE_PGM_RSRC2:TGID_X_EN: 1
; COMPUTE_PGM_RSRC2:TGID_Y_EN: 0
; COMPUTE_PGM_RSRC2:TGID_Z_EN: 0
; COMPUTE_PGM_RSRC2:TIDIG_COMP_CNT: 0
; COMPUTE_PGM_RSRC3_GFX90A:ACCUM_OFFSET: 7
; COMPUTE_PGM_RSRC3_GFX90A:TG_SPLIT: 0
	.section	.text._Z6kernelI14exclusive_scanILN6hipcub18BlockScanAlgorithmE1EEdLj256ELj4ELj100EEvPKT0_PS4_S4_,"axG",@progbits,_Z6kernelI14exclusive_scanILN6hipcub18BlockScanAlgorithmE1EEdLj256ELj4ELj100EEvPKT0_PS4_S4_,comdat
	.protected	_Z6kernelI14exclusive_scanILN6hipcub18BlockScanAlgorithmE1EEdLj256ELj4ELj100EEvPKT0_PS4_S4_ ; -- Begin function _Z6kernelI14exclusive_scanILN6hipcub18BlockScanAlgorithmE1EEdLj256ELj4ELj100EEvPKT0_PS4_S4_
	.globl	_Z6kernelI14exclusive_scanILN6hipcub18BlockScanAlgorithmE1EEdLj256ELj4ELj100EEvPKT0_PS4_S4_
	.p2align	8
	.type	_Z6kernelI14exclusive_scanILN6hipcub18BlockScanAlgorithmE1EEdLj256ELj4ELj100EEvPKT0_PS4_S4_,@function
_Z6kernelI14exclusive_scanILN6hipcub18BlockScanAlgorithmE1EEdLj256ELj4ELj100EEvPKT0_PS4_S4_: ; @_Z6kernelI14exclusive_scanILN6hipcub18BlockScanAlgorithmE1EEdLj256ELj4ELj100EEvPKT0_PS4_S4_
; %bb.0:
	s_load_dwordx4 s[4:7], s[0:1], 0x0
	s_load_dword s3, s[0:1], 0x24
	s_load_dwordx2 s[8:9], s[0:1], 0x10
	v_mov_b32_e32 v15, 0
	v_lshrrev_b32_e32 v1, 5, v0
	s_waitcnt lgkmcnt(0)
	v_mov_b32_e32 v2, s4
	s_and_b32 s0, s3, 0xffff
	s_mul_i32 s2, s2, s0
	v_mov_b32_e32 v3, s5
	v_add_lshl_u32 v14, s2, v0, 2
	v_lshl_add_u64 v[10:11], v[14:15], 3, v[2:3]
	global_load_dwordx4 v[2:5], v[10:11], off offset:16
	global_load_dwordx4 v[6:9], v[10:11], off
	v_add_lshl_u32 v16, v1, v0, 3
	v_cmp_gt_u32_e32 vcc, 64, v0
	v_cmp_eq_u32_e64 s[0:1], 0, v0
	v_cmp_ne_u32_e64 s[2:3], 0, v0
	v_lshlrev_b32_e32 v1, 2, v0
	v_lshrrev_b32_e32 v10, 3, v0
	v_add_u32_e32 v0, -1, v0
	v_add_lshl_u32 v17, v10, v1, 3
	v_lshrrev_b32_e32 v1, 5, v0
	v_add_lshl_u32 v18, v1, v0, 3
	v_mbcnt_lo_u32_b32 v0, -1, 0
	v_mbcnt_hi_u32_b32 v19, -1, v0
	s_movk_i32 s12, 0x64
	v_and_b32_e32 v20, 15, v19
	v_and_b32_e32 v21, 16, v19
	v_add_u32_e32 v22, -1, v19
	v_and_b32_e32 v23, 64, v19
.LBB146_1:                              ; =>This Inner Loop Header: Depth=1
	s_waitcnt vmcnt(0)
	v_add_f64 v[0:1], v[6:7], v[8:9]
	v_add_f64 v[0:1], v[2:3], v[0:1]
	;; [unrolled: 1-line block ×3, first 2 shown]
	ds_write_b64 v16, v[0:1]
	s_waitcnt lgkmcnt(0)
	s_barrier
	s_and_saveexec_b64 s[10:11], vcc
	s_cbranch_execz .LBB146_3
; %bb.2:                                ;   in Loop: Header=BB146_1 Depth=1
	ds_read2_b64 v[10:13], v17 offset1:1
	ds_read2_b64 v[24:27], v17 offset0:2 offset1:3
	v_cmp_eq_u32_e64 s[4:5], 0, v20
	s_waitcnt lgkmcnt(1)
	v_add_f64 v[4:5], v[10:11], v[12:13]
	s_waitcnt lgkmcnt(0)
	v_add_f64 v[4:5], v[4:5], v[24:25]
	v_add_f64 v[4:5], v[4:5], v[26:27]
	s_nop 1
	v_mov_b32_dpp v28, v4 row_shr:1 row_mask:0xf bank_mask:0xf
	v_mov_b32_dpp v29, v5 row_shr:1 row_mask:0xf bank_mask:0xf
	v_add_f64 v[28:29], v[4:5], v[28:29]
	v_cndmask_b32_e64 v5, v29, v5, s[4:5]
	v_cndmask_b32_e64 v4, v28, v4, s[4:5]
	v_cmp_lt_u32_e64 s[4:5], 1, v20
	v_mov_b32_dpp v29, v5 row_shr:2 row_mask:0xf bank_mask:0xf
	v_mov_b32_dpp v28, v4 row_shr:2 row_mask:0xf bank_mask:0xf
	v_add_f64 v[28:29], v[4:5], v[28:29]
	v_cndmask_b32_e64 v4, v4, v28, s[4:5]
	v_cndmask_b32_e64 v5, v5, v29, s[4:5]
	v_cmp_lt_u32_e64 s[4:5], 3, v20
	v_mov_b32_dpp v28, v4 row_shr:4 row_mask:0xf bank_mask:0xf
	v_mov_b32_dpp v29, v5 row_shr:4 row_mask:0xf bank_mask:0xf
	v_add_f64 v[28:29], v[4:5], v[28:29]
	v_cndmask_b32_e64 v4, v4, v28, s[4:5]
	v_cndmask_b32_e64 v5, v5, v29, s[4:5]
	v_cmp_lt_u32_e64 s[4:5], 7, v20
	v_mov_b32_dpp v28, v4 row_shr:8 row_mask:0xf bank_mask:0xf
	v_mov_b32_dpp v29, v5 row_shr:8 row_mask:0xf bank_mask:0xf
	v_add_f64 v[28:29], v[4:5], v[28:29]
	v_cndmask_b32_e64 v4, v4, v28, s[4:5]
	v_cndmask_b32_e64 v5, v5, v29, s[4:5]
	v_cmp_eq_u32_e64 s[4:5], 0, v21
	v_mov_b32_dpp v28, v4 row_bcast:15 row_mask:0xf bank_mask:0xf
	v_mov_b32_dpp v29, v5 row_bcast:15 row_mask:0xf bank_mask:0xf
	v_add_f64 v[28:29], v[4:5], v[28:29]
	v_cndmask_b32_e64 v5, v29, v5, s[4:5]
	v_cndmask_b32_e64 v4, v28, v4, s[4:5]
	v_cmp_lt_u32_e64 s[4:5], 31, v19
	v_mov_b32_dpp v29, v5 row_bcast:31 row_mask:0xf bank_mask:0xf
	v_mov_b32_dpp v28, v4 row_bcast:31 row_mask:0xf bank_mask:0xf
	v_add_f64 v[28:29], v[4:5], v[28:29]
	v_cndmask_b32_e64 v5, v5, v29, s[4:5]
	v_cndmask_b32_e64 v4, v4, v28, s[4:5]
	v_cmp_lt_i32_e64 s[4:5], v22, v23
	s_nop 1
	v_cndmask_b32_e64 v28, v22, v19, s[4:5]
	v_lshlrev_b32_e32 v28, 2, v28
	ds_bpermute_b32 v4, v28, v4
	ds_bpermute_b32 v5, v28, v5
	s_waitcnt lgkmcnt(0)
	v_add_f64 v[4:5], v[10:11], v[4:5]
	v_cndmask_b32_e64 v1, v5, v1, s[0:1]
	v_cndmask_b32_e64 v0, v4, v0, s[0:1]
	v_add_f64 v[4:5], v[12:13], v[0:1]
	ds_write2_b64 v17, v[0:1], v[4:5] offset1:1
	v_add_f64 v[0:1], v[24:25], v[4:5]
	v_add_f64 v[4:5], v[26:27], v[0:1]
	ds_write2_b64 v17, v[0:1], v[4:5] offset0:2 offset1:3
.LBB146_3:                              ;   in Loop: Header=BB146_1 Depth=1
	s_or_b64 exec, exec, s[10:11]
	v_mov_b64_e32 v[10:11], s[8:9]
	s_waitcnt lgkmcnt(0)
	s_barrier
	s_and_saveexec_b64 s[4:5], s[2:3]
	s_cbranch_execz .LBB146_5
; %bb.4:                                ;   in Loop: Header=BB146_1 Depth=1
	ds_read_b64 v[0:1], v18
	s_waitcnt lgkmcnt(0)
	v_add_f64 v[10:11], v[0:1], s[8:9]
.LBB146_5:                              ;   in Loop: Header=BB146_1 Depth=1
	s_or_b64 exec, exec, s[4:5]
	v_add_f64 v[12:13], v[6:7], v[10:11]
	v_add_f64 v[0:1], v[8:9], v[12:13]
	s_add_i32 s12, s12, -1
	s_cmp_lg_u32 s12, 0
	v_add_f64 v[4:5], v[2:3], v[0:1]
	s_cbranch_scc0 .LBB146_7
; %bb.6:                                ;   in Loop: Header=BB146_1 Depth=1
	v_mov_b64_e32 v[6:7], v[10:11]
	v_mov_b64_e32 v[8:9], v[12:13]
	;; [unrolled: 1-line block ×3, first 2 shown]
	s_branch .LBB146_1
.LBB146_7:
	v_mov_b32_e32 v2, s6
	v_mov_b32_e32 v3, s7
	v_lshl_add_u64 v[6:7], v[14:15], 3, v[2:3]
	v_mov_b32_e32 v2, v4
	v_mov_b32_e32 v3, v5
	global_store_dwordx4 v[6:7], v[10:13], off
	global_store_dwordx4 v[6:7], v[0:3], off offset:16
	s_endpgm
	.section	.rodata,"a",@progbits
	.p2align	6, 0x0
	.amdhsa_kernel _Z6kernelI14exclusive_scanILN6hipcub18BlockScanAlgorithmE1EEdLj256ELj4ELj100EEvPKT0_PS4_S4_
		.amdhsa_group_segment_fixed_size 2112
		.amdhsa_private_segment_fixed_size 0
		.amdhsa_kernarg_size 280
		.amdhsa_user_sgpr_count 2
		.amdhsa_user_sgpr_dispatch_ptr 0
		.amdhsa_user_sgpr_queue_ptr 0
		.amdhsa_user_sgpr_kernarg_segment_ptr 1
		.amdhsa_user_sgpr_dispatch_id 0
		.amdhsa_user_sgpr_kernarg_preload_length 0
		.amdhsa_user_sgpr_kernarg_preload_offset 0
		.amdhsa_user_sgpr_private_segment_size 0
		.amdhsa_uses_dynamic_stack 0
		.amdhsa_enable_private_segment 0
		.amdhsa_system_sgpr_workgroup_id_x 1
		.amdhsa_system_sgpr_workgroup_id_y 0
		.amdhsa_system_sgpr_workgroup_id_z 0
		.amdhsa_system_sgpr_workgroup_info 0
		.amdhsa_system_vgpr_workitem_id 0
		.amdhsa_next_free_vgpr 30
		.amdhsa_next_free_sgpr 13
		.amdhsa_accum_offset 32
		.amdhsa_reserve_vcc 1
		.amdhsa_float_round_mode_32 0
		.amdhsa_float_round_mode_16_64 0
		.amdhsa_float_denorm_mode_32 3
		.amdhsa_float_denorm_mode_16_64 3
		.amdhsa_dx10_clamp 1
		.amdhsa_ieee_mode 1
		.amdhsa_fp16_overflow 0
		.amdhsa_tg_split 0
		.amdhsa_exception_fp_ieee_invalid_op 0
		.amdhsa_exception_fp_denorm_src 0
		.amdhsa_exception_fp_ieee_div_zero 0
		.amdhsa_exception_fp_ieee_overflow 0
		.amdhsa_exception_fp_ieee_underflow 0
		.amdhsa_exception_fp_ieee_inexact 0
		.amdhsa_exception_int_div_zero 0
	.end_amdhsa_kernel
	.section	.text._Z6kernelI14exclusive_scanILN6hipcub18BlockScanAlgorithmE1EEdLj256ELj4ELj100EEvPKT0_PS4_S4_,"axG",@progbits,_Z6kernelI14exclusive_scanILN6hipcub18BlockScanAlgorithmE1EEdLj256ELj4ELj100EEvPKT0_PS4_S4_,comdat
.Lfunc_end146:
	.size	_Z6kernelI14exclusive_scanILN6hipcub18BlockScanAlgorithmE1EEdLj256ELj4ELj100EEvPKT0_PS4_S4_, .Lfunc_end146-_Z6kernelI14exclusive_scanILN6hipcub18BlockScanAlgorithmE1EEdLj256ELj4ELj100EEvPKT0_PS4_S4_
                                        ; -- End function
	.section	.AMDGPU.csdata,"",@progbits
; Kernel info:
; codeLenInByte = 828
; NumSgprs: 19
; NumVgprs: 30
; NumAgprs: 0
; TotalNumVgprs: 30
; ScratchSize: 0
; MemoryBound: 0
; FloatMode: 240
; IeeeMode: 1
; LDSByteSize: 2112 bytes/workgroup (compile time only)
; SGPRBlocks: 2
; VGPRBlocks: 3
; NumSGPRsForWavesPerEU: 19
; NumVGPRsForWavesPerEU: 30
; AccumOffset: 32
; Occupancy: 8
; WaveLimiterHint : 0
; COMPUTE_PGM_RSRC2:SCRATCH_EN: 0
; COMPUTE_PGM_RSRC2:USER_SGPR: 2
; COMPUTE_PGM_RSRC2:TRAP_HANDLER: 0
; COMPUTE_PGM_RSRC2:TGID_X_EN: 1
; COMPUTE_PGM_RSRC2:TGID_Y_EN: 0
; COMPUTE_PGM_RSRC2:TGID_Z_EN: 0
; COMPUTE_PGM_RSRC2:TIDIG_COMP_CNT: 0
; COMPUTE_PGM_RSRC3_GFX90A:ACCUM_OFFSET: 7
; COMPUTE_PGM_RSRC3_GFX90A:TG_SPLIT: 0
	.section	.text._Z6kernelI14exclusive_scanILN6hipcub18BlockScanAlgorithmE1EEdLj256ELj8ELj100EEvPKT0_PS4_S4_,"axG",@progbits,_Z6kernelI14exclusive_scanILN6hipcub18BlockScanAlgorithmE1EEdLj256ELj8ELj100EEvPKT0_PS4_S4_,comdat
	.protected	_Z6kernelI14exclusive_scanILN6hipcub18BlockScanAlgorithmE1EEdLj256ELj8ELj100EEvPKT0_PS4_S4_ ; -- Begin function _Z6kernelI14exclusive_scanILN6hipcub18BlockScanAlgorithmE1EEdLj256ELj8ELj100EEvPKT0_PS4_S4_
	.globl	_Z6kernelI14exclusive_scanILN6hipcub18BlockScanAlgorithmE1EEdLj256ELj8ELj100EEvPKT0_PS4_S4_
	.p2align	8
	.type	_Z6kernelI14exclusive_scanILN6hipcub18BlockScanAlgorithmE1EEdLj256ELj8ELj100EEvPKT0_PS4_S4_,@function
_Z6kernelI14exclusive_scanILN6hipcub18BlockScanAlgorithmE1EEdLj256ELj8ELj100EEvPKT0_PS4_S4_: ; @_Z6kernelI14exclusive_scanILN6hipcub18BlockScanAlgorithmE1EEdLj256ELj8ELj100EEvPKT0_PS4_S4_
; %bb.0:
	s_load_dwordx4 s[4:7], s[0:1], 0x0
	s_load_dword s3, s[0:1], 0x24
	s_load_dwordx2 s[8:9], s[0:1], 0x10
	v_mov_b32_e32 v23, 0
	v_lshrrev_b32_e32 v1, 5, v0
	s_waitcnt lgkmcnt(0)
	v_mov_b32_e32 v2, s4
	s_and_b32 s0, s3, 0xffff
	s_mul_i32 s2, s2, s0
	v_mov_b32_e32 v3, s5
	v_add_lshl_u32 v22, s2, v0, 3
	v_lshl_add_u64 v[18:19], v[22:23], 3, v[2:3]
	global_load_dwordx4 v[2:5], v[18:19], off offset:48
	global_load_dwordx4 v[6:9], v[18:19], off offset:32
	global_load_dwordx4 v[10:13], v[18:19], off offset:16
	global_load_dwordx4 v[14:17], v[18:19], off
	v_add_lshl_u32 v24, v1, v0, 3
	v_cmp_gt_u32_e32 vcc, 64, v0
	v_cmp_eq_u32_e64 s[0:1], 0, v0
	v_cmp_ne_u32_e64 s[2:3], 0, v0
	v_lshlrev_b32_e32 v1, 2, v0
	v_lshrrev_b32_e32 v18, 3, v0
	v_add_u32_e32 v0, -1, v0
	v_add_lshl_u32 v25, v18, v1, 3
	v_lshrrev_b32_e32 v1, 5, v0
	v_add_lshl_u32 v26, v1, v0, 3
	v_mbcnt_lo_u32_b32 v0, -1, 0
	s_movk_i32 s12, 0x64
	v_mbcnt_hi_u32_b32 v27, -1, v0
.LBB147_1:                              ; =>This Inner Loop Header: Depth=1
	s_waitcnt vmcnt(0)
	v_add_f64 v[0:1], v[16:17], v[14:15]
	v_add_f64 v[0:1], v[10:11], v[0:1]
	;; [unrolled: 1-line block ×7, first 2 shown]
	ds_write_b64 v24, v[0:1]
	s_waitcnt lgkmcnt(0)
	s_barrier
	s_and_saveexec_b64 s[10:11], vcc
	s_cbranch_execz .LBB147_3
; %bb.2:                                ;   in Loop: Header=BB147_1 Depth=1
	ds_read2_b64 v[18:21], v25 offset1:1
	ds_read2_b64 v[28:31], v25 offset0:2 offset1:3
	v_and_b32_e32 v34, 15, v27
	v_cmp_eq_u32_e64 s[4:5], 0, v34
	s_waitcnt lgkmcnt(1)
	v_add_f64 v[4:5], v[18:19], v[20:21]
	s_waitcnt lgkmcnt(0)
	v_add_f64 v[4:5], v[4:5], v[28:29]
	v_add_f64 v[4:5], v[4:5], v[30:31]
	s_nop 1
	v_mov_b32_dpp v32, v4 row_shr:1 row_mask:0xf bank_mask:0xf
	v_mov_b32_dpp v33, v5 row_shr:1 row_mask:0xf bank_mask:0xf
	v_add_f64 v[32:33], v[4:5], v[32:33]
	v_cndmask_b32_e64 v5, v33, v5, s[4:5]
	v_cndmask_b32_e64 v4, v32, v4, s[4:5]
	v_cmp_lt_u32_e64 s[4:5], 1, v34
	v_mov_b32_dpp v33, v5 row_shr:2 row_mask:0xf bank_mask:0xf
	v_mov_b32_dpp v32, v4 row_shr:2 row_mask:0xf bank_mask:0xf
	v_add_f64 v[32:33], v[4:5], v[32:33]
	v_cndmask_b32_e64 v4, v4, v32, s[4:5]
	v_cndmask_b32_e64 v5, v5, v33, s[4:5]
	v_cmp_lt_u32_e64 s[4:5], 3, v34
	;; [unrolled: 6-line block ×3, first 2 shown]
	v_mov_b32_dpp v32, v4 row_shr:8 row_mask:0xf bank_mask:0xf
	v_mov_b32_dpp v33, v5 row_shr:8 row_mask:0xf bank_mask:0xf
	v_add_f64 v[32:33], v[4:5], v[32:33]
	v_cndmask_b32_e64 v4, v4, v32, s[4:5]
	v_cndmask_b32_e64 v5, v5, v33, s[4:5]
	v_and_b32_e32 v34, 16, v27
	v_mov_b32_dpp v32, v4 row_bcast:15 row_mask:0xf bank_mask:0xf
	v_mov_b32_dpp v33, v5 row_bcast:15 row_mask:0xf bank_mask:0xf
	v_add_f64 v[32:33], v[4:5], v[32:33]
	v_cmp_eq_u32_e64 s[4:5], 0, v34
	s_nop 1
	v_cndmask_b32_e64 v5, v33, v5, s[4:5]
	v_cndmask_b32_e64 v4, v32, v4, s[4:5]
	v_cmp_lt_u32_e64 s[4:5], 31, v27
	v_mov_b32_dpp v33, v5 row_bcast:31 row_mask:0xf bank_mask:0xf
	v_mov_b32_dpp v32, v4 row_bcast:31 row_mask:0xf bank_mask:0xf
	v_add_f64 v[32:33], v[4:5], v[32:33]
	v_cndmask_b32_e64 v5, v5, v33, s[4:5]
	v_cndmask_b32_e64 v4, v4, v32, s[4:5]
	v_add_u32_e32 v32, -1, v27
	v_and_b32_e32 v33, 64, v27
	v_cmp_lt_i32_e64 s[4:5], v32, v33
	s_nop 1
	v_cndmask_b32_e64 v32, v32, v27, s[4:5]
	v_lshlrev_b32_e32 v32, 2, v32
	ds_bpermute_b32 v4, v32, v4
	ds_bpermute_b32 v5, v32, v5
	s_waitcnt lgkmcnt(0)
	v_add_f64 v[4:5], v[18:19], v[4:5]
	v_cndmask_b32_e64 v1, v5, v1, s[0:1]
	v_cndmask_b32_e64 v0, v4, v0, s[0:1]
	v_add_f64 v[4:5], v[20:21], v[0:1]
	ds_write2_b64 v25, v[0:1], v[4:5] offset1:1
	v_add_f64 v[0:1], v[28:29], v[4:5]
	v_add_f64 v[4:5], v[30:31], v[0:1]
	ds_write2_b64 v25, v[0:1], v[4:5] offset0:2 offset1:3
.LBB147_3:                              ;   in Loop: Header=BB147_1 Depth=1
	s_or_b64 exec, exec, s[10:11]
	v_mov_b64_e32 v[18:19], s[8:9]
	s_waitcnt lgkmcnt(0)
	s_barrier
	s_and_saveexec_b64 s[4:5], s[2:3]
	s_cbranch_execz .LBB147_5
; %bb.4:                                ;   in Loop: Header=BB147_1 Depth=1
	ds_read_b64 v[0:1], v26
	s_waitcnt lgkmcnt(0)
	v_add_f64 v[18:19], v[0:1], s[8:9]
.LBB147_5:                              ;   in Loop: Header=BB147_1 Depth=1
	s_or_b64 exec, exec, s[4:5]
	v_add_f64 v[20:21], v[14:15], v[18:19]
	v_add_f64 v[14:15], v[16:17], v[20:21]
	;; [unrolled: 1-line block ×6, first 2 shown]
	s_add_i32 s12, s12, -1
	s_cmp_lg_u32 s12, 0
	v_add_f64 v[4:5], v[2:3], v[0:1]
	s_cbranch_scc0 .LBB147_7
; %bb.6:                                ;   in Loop: Header=BB147_1 Depth=1
	v_mov_b64_e32 v[2:3], v[0:1]
	v_mov_b64_e32 v[8:9], v[12:13]
	;; [unrolled: 1-line block ×7, first 2 shown]
	s_branch .LBB147_1
.LBB147_7:
	v_mov_b32_e32 v2, s6
	v_mov_b32_e32 v3, s7
	v_lshl_add_u64 v[6:7], v[22:23], 3, v[2:3]
	v_mov_b32_e32 v2, v4
	v_mov_b32_e32 v3, v5
	global_store_dwordx4 v[6:7], v[18:21], off
	global_store_dwordx4 v[6:7], v[14:17], off offset:16
	global_store_dwordx4 v[6:7], v[10:13], off offset:32
	;; [unrolled: 1-line block ×3, first 2 shown]
	s_endpgm
	.section	.rodata,"a",@progbits
	.p2align	6, 0x0
	.amdhsa_kernel _Z6kernelI14exclusive_scanILN6hipcub18BlockScanAlgorithmE1EEdLj256ELj8ELj100EEvPKT0_PS4_S4_
		.amdhsa_group_segment_fixed_size 2112
		.amdhsa_private_segment_fixed_size 0
		.amdhsa_kernarg_size 280
		.amdhsa_user_sgpr_count 2
		.amdhsa_user_sgpr_dispatch_ptr 0
		.amdhsa_user_sgpr_queue_ptr 0
		.amdhsa_user_sgpr_kernarg_segment_ptr 1
		.amdhsa_user_sgpr_dispatch_id 0
		.amdhsa_user_sgpr_kernarg_preload_length 0
		.amdhsa_user_sgpr_kernarg_preload_offset 0
		.amdhsa_user_sgpr_private_segment_size 0
		.amdhsa_uses_dynamic_stack 0
		.amdhsa_enable_private_segment 0
		.amdhsa_system_sgpr_workgroup_id_x 1
		.amdhsa_system_sgpr_workgroup_id_y 0
		.amdhsa_system_sgpr_workgroup_id_z 0
		.amdhsa_system_sgpr_workgroup_info 0
		.amdhsa_system_vgpr_workitem_id 0
		.amdhsa_next_free_vgpr 35
		.amdhsa_next_free_sgpr 13
		.amdhsa_accum_offset 36
		.amdhsa_reserve_vcc 1
		.amdhsa_float_round_mode_32 0
		.amdhsa_float_round_mode_16_64 0
		.amdhsa_float_denorm_mode_32 3
		.amdhsa_float_denorm_mode_16_64 3
		.amdhsa_dx10_clamp 1
		.amdhsa_ieee_mode 1
		.amdhsa_fp16_overflow 0
		.amdhsa_tg_split 0
		.amdhsa_exception_fp_ieee_invalid_op 0
		.amdhsa_exception_fp_denorm_src 0
		.amdhsa_exception_fp_ieee_div_zero 0
		.amdhsa_exception_fp_ieee_overflow 0
		.amdhsa_exception_fp_ieee_underflow 0
		.amdhsa_exception_fp_ieee_inexact 0
		.amdhsa_exception_int_div_zero 0
	.end_amdhsa_kernel
	.section	.text._Z6kernelI14exclusive_scanILN6hipcub18BlockScanAlgorithmE1EEdLj256ELj8ELj100EEvPKT0_PS4_S4_,"axG",@progbits,_Z6kernelI14exclusive_scanILN6hipcub18BlockScanAlgorithmE1EEdLj256ELj8ELj100EEvPKT0_PS4_S4_,comdat
.Lfunc_end147:
	.size	_Z6kernelI14exclusive_scanILN6hipcub18BlockScanAlgorithmE1EEdLj256ELj8ELj100EEvPKT0_PS4_S4_, .Lfunc_end147-_Z6kernelI14exclusive_scanILN6hipcub18BlockScanAlgorithmE1EEdLj256ELj8ELj100EEvPKT0_PS4_S4_
                                        ; -- End function
	.section	.AMDGPU.csdata,"",@progbits
; Kernel info:
; codeLenInByte = 944
; NumSgprs: 19
; NumVgprs: 35
; NumAgprs: 0
; TotalNumVgprs: 35
; ScratchSize: 0
; MemoryBound: 0
; FloatMode: 240
; IeeeMode: 1
; LDSByteSize: 2112 bytes/workgroup (compile time only)
; SGPRBlocks: 2
; VGPRBlocks: 4
; NumSGPRsForWavesPerEU: 19
; NumVGPRsForWavesPerEU: 35
; AccumOffset: 36
; Occupancy: 8
; WaveLimiterHint : 0
; COMPUTE_PGM_RSRC2:SCRATCH_EN: 0
; COMPUTE_PGM_RSRC2:USER_SGPR: 2
; COMPUTE_PGM_RSRC2:TRAP_HANDLER: 0
; COMPUTE_PGM_RSRC2:TGID_X_EN: 1
; COMPUTE_PGM_RSRC2:TGID_Y_EN: 0
; COMPUTE_PGM_RSRC2:TGID_Z_EN: 0
; COMPUTE_PGM_RSRC2:TIDIG_COMP_CNT: 0
; COMPUTE_PGM_RSRC3_GFX90A:ACCUM_OFFSET: 8
; COMPUTE_PGM_RSRC3_GFX90A:TG_SPLIT: 0
	.section	.text._Z6kernelI14exclusive_scanILN6hipcub18BlockScanAlgorithmE1EEdLj256ELj11ELj100EEvPKT0_PS4_S4_,"axG",@progbits,_Z6kernelI14exclusive_scanILN6hipcub18BlockScanAlgorithmE1EEdLj256ELj11ELj100EEvPKT0_PS4_S4_,comdat
	.protected	_Z6kernelI14exclusive_scanILN6hipcub18BlockScanAlgorithmE1EEdLj256ELj11ELj100EEvPKT0_PS4_S4_ ; -- Begin function _Z6kernelI14exclusive_scanILN6hipcub18BlockScanAlgorithmE1EEdLj256ELj11ELj100EEvPKT0_PS4_S4_
	.globl	_Z6kernelI14exclusive_scanILN6hipcub18BlockScanAlgorithmE1EEdLj256ELj11ELj100EEvPKT0_PS4_S4_
	.p2align	8
	.type	_Z6kernelI14exclusive_scanILN6hipcub18BlockScanAlgorithmE1EEdLj256ELj11ELj100EEvPKT0_PS4_S4_,@function
_Z6kernelI14exclusive_scanILN6hipcub18BlockScanAlgorithmE1EEdLj256ELj11ELj100EEvPKT0_PS4_S4_: ; @_Z6kernelI14exclusive_scanILN6hipcub18BlockScanAlgorithmE1EEdLj256ELj11ELj100EEvPKT0_PS4_S4_
; %bb.0:
	s_load_dword s3, s[0:1], 0x24
	s_load_dwordx4 s[4:7], s[0:1], 0x0
	s_load_dwordx2 s[8:9], s[0:1], 0x10
	v_mov_b32_e32 v3, 0
	v_mov_b32_e32 v5, v3
	s_waitcnt lgkmcnt(0)
	s_and_b32 s0, s3, 0xffff
	s_mul_i32 s2, s2, s0
	v_add_u32_e32 v1, s2, v0
	v_mul_lo_u32 v2, v1, 11
	v_lshl_add_u64 v[10:11], v[2:3], 3, s[4:5]
	v_add_u32_e32 v4, 1, v2
	v_add_u32_e32 v6, 2, v2
	v_mov_b32_e32 v7, v3
	v_add_u32_e32 v8, 3, v2
	v_mov_b32_e32 v9, v3
	v_lshl_add_u64 v[12:13], v[4:5], 3, s[4:5]
	v_lshl_add_u64 v[14:15], v[6:7], 3, s[4:5]
	;; [unrolled: 1-line block ×3, first 2 shown]
	global_load_dwordx2 v[30:31], v[10:11], off
	global_load_dwordx2 v[28:29], v[12:13], off
	;; [unrolled: 1-line block ×4, first 2 shown]
	v_add_u32_e32 v10, 4, v2
	v_mov_b32_e32 v11, v3
	v_lshl_add_u64 v[18:19], v[10:11], 3, s[4:5]
	v_add_u32_e32 v12, 5, v2
	v_mov_b32_e32 v13, v3
	v_add_u32_e32 v14, 6, v2
	v_mov_b32_e32 v15, v3
	;; [unrolled: 2-line block ×3, first 2 shown]
	v_lshl_add_u64 v[20:21], v[12:13], 3, s[4:5]
	v_lshl_add_u64 v[22:23], v[14:15], 3, s[4:5]
	;; [unrolled: 1-line block ×3, first 2 shown]
	global_load_dwordx2 v[38:39], v[18:19], off
	global_load_dwordx2 v[36:37], v[20:21], off
	;; [unrolled: 1-line block ×4, first 2 shown]
	v_add_u32_e32 v18, 8, v2
	v_mov_b32_e32 v19, v3
	v_lshl_add_u64 v[46:47], v[18:19], 3, s[4:5]
	v_add_u32_e32 v20, 9, v2
	v_mov_b32_e32 v21, v3
	v_add_u32_e32 v22, 10, v2
	v_mov_b32_e32 v23, v3
	v_lshl_add_u64 v[48:49], v[20:21], 3, s[4:5]
	v_lshl_add_u64 v[50:51], v[22:23], 3, s[4:5]
	global_load_dwordx2 v[42:43], v[46:47], off
	global_load_dwordx2 v[40:41], v[48:49], off
	;; [unrolled: 1-line block ×3, first 2 shown]
	v_lshrrev_b32_e32 v1, 5, v0
	v_add_lshl_u32 v46, v1, v0, 3
	v_cmp_gt_u32_e32 vcc, 64, v0
	v_cmp_eq_u32_e64 s[0:1], 0, v0
	v_cmp_ne_u32_e64 s[2:3], 0, v0
	v_lshlrev_b32_e32 v1, 2, v0
	v_lshrrev_b32_e32 v47, 3, v0
	v_add_u32_e32 v0, -1, v0
	v_add_lshl_u32 v47, v47, v1, 3
	v_lshrrev_b32_e32 v1, 5, v0
	v_add_lshl_u32 v48, v1, v0, 3
	v_mbcnt_lo_u32_b32 v0, -1, 0
	s_movk_i32 s12, 0x64
	v_mbcnt_hi_u32_b32 v49, -1, v0
.LBB148_1:                              ; =>This Inner Loop Header: Depth=1
	s_waitcnt vmcnt(9)
	v_add_f64 v[0:1], v[28:29], v[30:31]
	s_waitcnt vmcnt(8)
	v_add_f64 v[0:1], v[26:27], v[0:1]
	;; [unrolled: 2-line block ×10, first 2 shown]
	ds_write_b64 v46, v[0:1]
	s_waitcnt lgkmcnt(0)
	s_barrier
	s_and_saveexec_b64 s[10:11], vcc
	s_cbranch_execz .LBB148_3
; %bb.2:                                ;   in Loop: Header=BB148_1 Depth=1
	ds_read2_b64 v[50:53], v47 offset1:1
	ds_read2_b64 v[54:57], v47 offset0:2 offset1:3
	v_and_b32_e32 v60, 15, v49
	v_cmp_eq_u32_e64 s[4:5], 0, v60
	s_waitcnt lgkmcnt(1)
	v_add_f64 v[44:45], v[50:51], v[52:53]
	s_waitcnt lgkmcnt(0)
	v_add_f64 v[44:45], v[44:45], v[54:55]
	v_add_f64 v[44:45], v[44:45], v[56:57]
	s_nop 1
	v_mov_b32_dpp v58, v44 row_shr:1 row_mask:0xf bank_mask:0xf
	v_mov_b32_dpp v59, v45 row_shr:1 row_mask:0xf bank_mask:0xf
	v_add_f64 v[58:59], v[44:45], v[58:59]
	v_cndmask_b32_e64 v45, v59, v45, s[4:5]
	v_cndmask_b32_e64 v44, v58, v44, s[4:5]
	v_cmp_lt_u32_e64 s[4:5], 1, v60
	v_mov_b32_dpp v59, v45 row_shr:2 row_mask:0xf bank_mask:0xf
	v_mov_b32_dpp v58, v44 row_shr:2 row_mask:0xf bank_mask:0xf
	v_add_f64 v[58:59], v[44:45], v[58:59]
	v_cndmask_b32_e64 v44, v44, v58, s[4:5]
	v_cndmask_b32_e64 v45, v45, v59, s[4:5]
	v_cmp_lt_u32_e64 s[4:5], 3, v60
	;; [unrolled: 6-line block ×3, first 2 shown]
	v_mov_b32_dpp v58, v44 row_shr:8 row_mask:0xf bank_mask:0xf
	v_mov_b32_dpp v59, v45 row_shr:8 row_mask:0xf bank_mask:0xf
	v_add_f64 v[58:59], v[44:45], v[58:59]
	v_cndmask_b32_e64 v44, v44, v58, s[4:5]
	v_cndmask_b32_e64 v45, v45, v59, s[4:5]
	v_and_b32_e32 v60, 16, v49
	v_mov_b32_dpp v58, v44 row_bcast:15 row_mask:0xf bank_mask:0xf
	v_mov_b32_dpp v59, v45 row_bcast:15 row_mask:0xf bank_mask:0xf
	v_add_f64 v[58:59], v[44:45], v[58:59]
	v_cmp_eq_u32_e64 s[4:5], 0, v60
	s_nop 1
	v_cndmask_b32_e64 v45, v59, v45, s[4:5]
	v_cndmask_b32_e64 v44, v58, v44, s[4:5]
	v_cmp_lt_u32_e64 s[4:5], 31, v49
	v_mov_b32_dpp v59, v45 row_bcast:31 row_mask:0xf bank_mask:0xf
	v_mov_b32_dpp v58, v44 row_bcast:31 row_mask:0xf bank_mask:0xf
	v_add_f64 v[58:59], v[44:45], v[58:59]
	v_cndmask_b32_e64 v45, v45, v59, s[4:5]
	v_cndmask_b32_e64 v44, v44, v58, s[4:5]
	v_add_u32_e32 v58, -1, v49
	v_and_b32_e32 v59, 64, v49
	v_cmp_lt_i32_e64 s[4:5], v58, v59
	s_nop 1
	v_cndmask_b32_e64 v58, v58, v49, s[4:5]
	v_lshlrev_b32_e32 v58, 2, v58
	ds_bpermute_b32 v44, v58, v44
	ds_bpermute_b32 v45, v58, v45
	s_waitcnt lgkmcnt(0)
	v_add_f64 v[44:45], v[50:51], v[44:45]
	v_cndmask_b32_e64 v1, v45, v1, s[0:1]
	v_cndmask_b32_e64 v0, v44, v0, s[0:1]
	v_add_f64 v[44:45], v[52:53], v[0:1]
	ds_write2_b64 v47, v[0:1], v[44:45] offset1:1
	v_add_f64 v[0:1], v[54:55], v[44:45]
	v_add_f64 v[44:45], v[56:57], v[0:1]
	ds_write2_b64 v47, v[0:1], v[44:45] offset0:2 offset1:3
.LBB148_3:                              ;   in Loop: Header=BB148_1 Depth=1
	s_or_b64 exec, exec, s[10:11]
	v_mov_b64_e32 v[0:1], s[8:9]
	s_waitcnt lgkmcnt(0)
	s_barrier
	s_and_saveexec_b64 s[4:5], s[2:3]
	s_cbranch_execz .LBB148_5
; %bb.4:                                ;   in Loop: Header=BB148_1 Depth=1
	ds_read_b64 v[0:1], v48
	s_waitcnt lgkmcnt(0)
	v_add_f64 v[0:1], v[0:1], s[8:9]
.LBB148_5:                              ;   in Loop: Header=BB148_1 Depth=1
	s_or_b64 exec, exec, s[4:5]
	v_add_f64 v[30:31], v[30:31], v[0:1]
	v_add_f64 v[28:29], v[28:29], v[30:31]
	;; [unrolled: 1-line block ×9, first 2 shown]
	s_add_i32 s12, s12, -1
	s_cmp_lg_u32 s12, 0
	v_add_f64 v[44:45], v[40:41], v[42:43]
	s_cbranch_scc0 .LBB148_7
; %bb.6:                                ;   in Loop: Header=BB148_1 Depth=1
	v_mov_b64_e32 v[40:41], v[42:43]
	v_mov_b64_e32 v[42:43], v[32:33]
	;; [unrolled: 1-line block ×10, first 2 shown]
	s_branch .LBB148_1
.LBB148_7:
	v_lshl_add_u64 v[2:3], v[2:3], 3, s[6:7]
	global_store_dwordx2 v[2:3], v[0:1], off
	v_lshl_add_u64 v[0:1], v[4:5], 3, s[6:7]
	global_store_dwordx2 v[0:1], v[30:31], off
	;; [unrolled: 2-line block ×11, first 2 shown]
	s_endpgm
	.section	.rodata,"a",@progbits
	.p2align	6, 0x0
	.amdhsa_kernel _Z6kernelI14exclusive_scanILN6hipcub18BlockScanAlgorithmE1EEdLj256ELj11ELj100EEvPKT0_PS4_S4_
		.amdhsa_group_segment_fixed_size 2112
		.amdhsa_private_segment_fixed_size 0
		.amdhsa_kernarg_size 280
		.amdhsa_user_sgpr_count 2
		.amdhsa_user_sgpr_dispatch_ptr 0
		.amdhsa_user_sgpr_queue_ptr 0
		.amdhsa_user_sgpr_kernarg_segment_ptr 1
		.amdhsa_user_sgpr_dispatch_id 0
		.amdhsa_user_sgpr_kernarg_preload_length 0
		.amdhsa_user_sgpr_kernarg_preload_offset 0
		.amdhsa_user_sgpr_private_segment_size 0
		.amdhsa_uses_dynamic_stack 0
		.amdhsa_enable_private_segment 0
		.amdhsa_system_sgpr_workgroup_id_x 1
		.amdhsa_system_sgpr_workgroup_id_y 0
		.amdhsa_system_sgpr_workgroup_id_z 0
		.amdhsa_system_sgpr_workgroup_info 0
		.amdhsa_system_vgpr_workitem_id 0
		.amdhsa_next_free_vgpr 61
		.amdhsa_next_free_sgpr 13
		.amdhsa_accum_offset 64
		.amdhsa_reserve_vcc 1
		.amdhsa_float_round_mode_32 0
		.amdhsa_float_round_mode_16_64 0
		.amdhsa_float_denorm_mode_32 3
		.amdhsa_float_denorm_mode_16_64 3
		.amdhsa_dx10_clamp 1
		.amdhsa_ieee_mode 1
		.amdhsa_fp16_overflow 0
		.amdhsa_tg_split 0
		.amdhsa_exception_fp_ieee_invalid_op 0
		.amdhsa_exception_fp_denorm_src 0
		.amdhsa_exception_fp_ieee_div_zero 0
		.amdhsa_exception_fp_ieee_overflow 0
		.amdhsa_exception_fp_ieee_underflow 0
		.amdhsa_exception_fp_ieee_inexact 0
		.amdhsa_exception_int_div_zero 0
	.end_amdhsa_kernel
	.section	.text._Z6kernelI14exclusive_scanILN6hipcub18BlockScanAlgorithmE1EEdLj256ELj11ELj100EEvPKT0_PS4_S4_,"axG",@progbits,_Z6kernelI14exclusive_scanILN6hipcub18BlockScanAlgorithmE1EEdLj256ELj11ELj100EEvPKT0_PS4_S4_,comdat
.Lfunc_end148:
	.size	_Z6kernelI14exclusive_scanILN6hipcub18BlockScanAlgorithmE1EEdLj256ELj11ELj100EEvPKT0_PS4_S4_, .Lfunc_end148-_Z6kernelI14exclusive_scanILN6hipcub18BlockScanAlgorithmE1EEdLj256ELj11ELj100EEvPKT0_PS4_S4_
                                        ; -- End function
	.section	.AMDGPU.csdata,"",@progbits
; Kernel info:
; codeLenInByte = 1372
; NumSgprs: 19
; NumVgprs: 61
; NumAgprs: 0
; TotalNumVgprs: 61
; ScratchSize: 0
; MemoryBound: 0
; FloatMode: 240
; IeeeMode: 1
; LDSByteSize: 2112 bytes/workgroup (compile time only)
; SGPRBlocks: 2
; VGPRBlocks: 7
; NumSGPRsForWavesPerEU: 19
; NumVGPRsForWavesPerEU: 61
; AccumOffset: 64
; Occupancy: 8
; WaveLimiterHint : 0
; COMPUTE_PGM_RSRC2:SCRATCH_EN: 0
; COMPUTE_PGM_RSRC2:USER_SGPR: 2
; COMPUTE_PGM_RSRC2:TRAP_HANDLER: 0
; COMPUTE_PGM_RSRC2:TGID_X_EN: 1
; COMPUTE_PGM_RSRC2:TGID_Y_EN: 0
; COMPUTE_PGM_RSRC2:TGID_Z_EN: 0
; COMPUTE_PGM_RSRC2:TIDIG_COMP_CNT: 0
; COMPUTE_PGM_RSRC3_GFX90A:ACCUM_OFFSET: 15
; COMPUTE_PGM_RSRC3_GFX90A:TG_SPLIT: 0
	.section	.text._Z6kernelI14exclusive_scanILN6hipcub18BlockScanAlgorithmE1EEdLj256ELj16ELj100EEvPKT0_PS4_S4_,"axG",@progbits,_Z6kernelI14exclusive_scanILN6hipcub18BlockScanAlgorithmE1EEdLj256ELj16ELj100EEvPKT0_PS4_S4_,comdat
	.protected	_Z6kernelI14exclusive_scanILN6hipcub18BlockScanAlgorithmE1EEdLj256ELj16ELj100EEvPKT0_PS4_S4_ ; -- Begin function _Z6kernelI14exclusive_scanILN6hipcub18BlockScanAlgorithmE1EEdLj256ELj16ELj100EEvPKT0_PS4_S4_
	.globl	_Z6kernelI14exclusive_scanILN6hipcub18BlockScanAlgorithmE1EEdLj256ELj16ELj100EEvPKT0_PS4_S4_
	.p2align	8
	.type	_Z6kernelI14exclusive_scanILN6hipcub18BlockScanAlgorithmE1EEdLj256ELj16ELj100EEvPKT0_PS4_S4_,@function
_Z6kernelI14exclusive_scanILN6hipcub18BlockScanAlgorithmE1EEdLj256ELj16ELj100EEvPKT0_PS4_S4_: ; @_Z6kernelI14exclusive_scanILN6hipcub18BlockScanAlgorithmE1EEdLj256ELj16ELj100EEvPKT0_PS4_S4_
; %bb.0:
	s_load_dwordx4 s[4:7], s[0:1], 0x0
	s_load_dword s3, s[0:1], 0x24
	s_load_dwordx2 s[8:9], s[0:1], 0x10
	v_mov_b32_e32 v47, 0
	v_lshrrev_b32_e32 v1, 5, v0
	s_waitcnt lgkmcnt(0)
	v_mov_b32_e32 v2, s4
	s_and_b32 s0, s3, 0xffff
	s_mul_i32 s2, s2, s0
	v_mov_b32_e32 v3, s5
	v_add_lshl_u32 v46, s2, v0, 4
	v_lshl_add_u64 v[34:35], v[46:47], 3, v[2:3]
	global_load_dwordx4 v[6:9], v[34:35], off offset:48
	global_load_dwordx4 v[10:13], v[34:35], off offset:32
	global_load_dwordx4 v[14:17], v[34:35], off offset:16
	global_load_dwordx4 v[18:21], v[34:35], off
	global_load_dwordx4 v[2:5], v[34:35], off offset:112
	global_load_dwordx4 v[22:25], v[34:35], off offset:96
	;; [unrolled: 1-line block ×4, first 2 shown]
	v_add_lshl_u32 v48, v1, v0, 3
	v_cmp_gt_u32_e32 vcc, 64, v0
	v_cmp_eq_u32_e64 s[0:1], 0, v0
	v_cmp_ne_u32_e64 s[2:3], 0, v0
	v_lshlrev_b32_e32 v1, 2, v0
	v_lshrrev_b32_e32 v34, 3, v0
	v_add_u32_e32 v0, -1, v0
	v_add_lshl_u32 v49, v34, v1, 3
	v_lshrrev_b32_e32 v1, 5, v0
	v_add_lshl_u32 v50, v1, v0, 3
	v_mbcnt_lo_u32_b32 v0, -1, 0
	s_movk_i32 s12, 0x64
	v_mbcnt_hi_u32_b32 v51, -1, v0
.LBB149_1:                              ; =>This Inner Loop Header: Depth=1
	s_waitcnt vmcnt(4)
	v_add_f64 v[0:1], v[20:21], v[18:19]
	v_add_f64 v[0:1], v[14:15], v[0:1]
	v_add_f64 v[0:1], v[16:17], v[0:1]
	v_add_f64 v[0:1], v[10:11], v[0:1]
	v_add_f64 v[0:1], v[12:13], v[0:1]
	v_add_f64 v[0:1], v[6:7], v[0:1]
	v_add_f64 v[0:1], v[8:9], v[0:1]
	s_waitcnt vmcnt(0)
	v_add_f64 v[0:1], v[30:31], v[0:1]
	v_add_f64 v[0:1], v[32:33], v[0:1]
	;; [unrolled: 1-line block ×8, first 2 shown]
	ds_write_b64 v48, v[0:1]
	s_waitcnt lgkmcnt(0)
	s_barrier
	s_and_saveexec_b64 s[10:11], vcc
	s_cbranch_execz .LBB149_3
; %bb.2:                                ;   in Loop: Header=BB149_1 Depth=1
	ds_read2_b64 v[34:37], v49 offset1:1
	ds_read2_b64 v[38:41], v49 offset0:2 offset1:3
	v_and_b32_e32 v44, 15, v51
	v_cmp_eq_u32_e64 s[4:5], 0, v44
	s_waitcnt lgkmcnt(1)
	v_add_f64 v[4:5], v[34:35], v[36:37]
	s_waitcnt lgkmcnt(0)
	v_add_f64 v[4:5], v[4:5], v[38:39]
	v_add_f64 v[4:5], v[4:5], v[40:41]
	s_nop 1
	v_mov_b32_dpp v42, v4 row_shr:1 row_mask:0xf bank_mask:0xf
	v_mov_b32_dpp v43, v5 row_shr:1 row_mask:0xf bank_mask:0xf
	v_add_f64 v[42:43], v[4:5], v[42:43]
	v_cndmask_b32_e64 v5, v43, v5, s[4:5]
	v_cndmask_b32_e64 v4, v42, v4, s[4:5]
	v_cmp_lt_u32_e64 s[4:5], 1, v44
	v_mov_b32_dpp v43, v5 row_shr:2 row_mask:0xf bank_mask:0xf
	v_mov_b32_dpp v42, v4 row_shr:2 row_mask:0xf bank_mask:0xf
	v_add_f64 v[42:43], v[4:5], v[42:43]
	v_cndmask_b32_e64 v4, v4, v42, s[4:5]
	v_cndmask_b32_e64 v5, v5, v43, s[4:5]
	v_cmp_lt_u32_e64 s[4:5], 3, v44
	v_mov_b32_dpp v42, v4 row_shr:4 row_mask:0xf bank_mask:0xf
	v_mov_b32_dpp v43, v5 row_shr:4 row_mask:0xf bank_mask:0xf
	v_add_f64 v[42:43], v[4:5], v[42:43]
	v_cndmask_b32_e64 v4, v4, v42, s[4:5]
	v_cndmask_b32_e64 v5, v5, v43, s[4:5]
	v_cmp_lt_u32_e64 s[4:5], 7, v44
	v_mov_b32_dpp v42, v4 row_shr:8 row_mask:0xf bank_mask:0xf
	v_mov_b32_dpp v43, v5 row_shr:8 row_mask:0xf bank_mask:0xf
	v_add_f64 v[42:43], v[4:5], v[42:43]
	v_cndmask_b32_e64 v4, v4, v42, s[4:5]
	v_cndmask_b32_e64 v5, v5, v43, s[4:5]
	v_and_b32_e32 v44, 16, v51
	v_mov_b32_dpp v42, v4 row_bcast:15 row_mask:0xf bank_mask:0xf
	v_mov_b32_dpp v43, v5 row_bcast:15 row_mask:0xf bank_mask:0xf
	v_add_f64 v[42:43], v[4:5], v[42:43]
	v_cmp_eq_u32_e64 s[4:5], 0, v44
	s_nop 1
	v_cndmask_b32_e64 v5, v43, v5, s[4:5]
	v_cndmask_b32_e64 v4, v42, v4, s[4:5]
	v_cmp_lt_u32_e64 s[4:5], 31, v51
	v_mov_b32_dpp v43, v5 row_bcast:31 row_mask:0xf bank_mask:0xf
	v_mov_b32_dpp v42, v4 row_bcast:31 row_mask:0xf bank_mask:0xf
	v_add_f64 v[42:43], v[4:5], v[42:43]
	v_cndmask_b32_e64 v5, v5, v43, s[4:5]
	v_cndmask_b32_e64 v4, v4, v42, s[4:5]
	v_add_u32_e32 v42, -1, v51
	v_and_b32_e32 v43, 64, v51
	v_cmp_lt_i32_e64 s[4:5], v42, v43
	s_nop 1
	v_cndmask_b32_e64 v42, v42, v51, s[4:5]
	v_lshlrev_b32_e32 v42, 2, v42
	ds_bpermute_b32 v4, v42, v4
	ds_bpermute_b32 v5, v42, v5
	s_waitcnt lgkmcnt(0)
	v_add_f64 v[4:5], v[34:35], v[4:5]
	v_cndmask_b32_e64 v1, v5, v1, s[0:1]
	v_cndmask_b32_e64 v0, v4, v0, s[0:1]
	v_add_f64 v[4:5], v[36:37], v[0:1]
	ds_write2_b64 v49, v[0:1], v[4:5] offset1:1
	v_add_f64 v[0:1], v[38:39], v[4:5]
	v_add_f64 v[4:5], v[40:41], v[0:1]
	ds_write2_b64 v49, v[0:1], v[4:5] offset0:2 offset1:3
.LBB149_3:                              ;   in Loop: Header=BB149_1 Depth=1
	s_or_b64 exec, exec, s[10:11]
	v_mov_b64_e32 v[34:35], s[8:9]
	s_waitcnt lgkmcnt(0)
	s_barrier
	s_and_saveexec_b64 s[4:5], s[2:3]
	s_cbranch_execz .LBB149_5
; %bb.4:                                ;   in Loop: Header=BB149_1 Depth=1
	ds_read_b64 v[0:1], v50
	s_waitcnt lgkmcnt(0)
	v_add_f64 v[34:35], v[0:1], s[8:9]
.LBB149_5:                              ;   in Loop: Header=BB149_1 Depth=1
	s_or_b64 exec, exec, s[4:5]
	v_add_f64 v[36:37], v[18:19], v[34:35]
	v_add_f64 v[42:43], v[20:21], v[36:37]
	;; [unrolled: 1-line block ×14, first 2 shown]
	s_add_i32 s12, s12, -1
	s_cmp_lg_u32 s12, 0
	v_add_f64 v[4:5], v[2:3], v[0:1]
	s_cbranch_scc0 .LBB149_7
; %bb.6:                                ;   in Loop: Header=BB149_1 Depth=1
	v_mov_b64_e32 v[2:3], v[0:1]
	v_mov_b64_e32 v[24:25], v[8:9]
	;; [unrolled: 1-line block ×15, first 2 shown]
	s_branch .LBB149_1
.LBB149_7:
	v_mov_b32_e32 v2, s6
	v_mov_b32_e32 v3, s7
	v_lshl_add_u64 v[22:23], v[46:47], 3, v[2:3]
	v_mov_b32_e32 v2, v4
	v_mov_b32_e32 v3, v5
	global_store_dwordx4 v[22:23], v[34:37], off
	global_store_dwordx4 v[22:23], v[42:45], off offset:16
	global_store_dwordx4 v[22:23], v[38:41], off offset:32
	;; [unrolled: 1-line block ×7, first 2 shown]
	s_endpgm
	.section	.rodata,"a",@progbits
	.p2align	6, 0x0
	.amdhsa_kernel _Z6kernelI14exclusive_scanILN6hipcub18BlockScanAlgorithmE1EEdLj256ELj16ELj100EEvPKT0_PS4_S4_
		.amdhsa_group_segment_fixed_size 2112
		.amdhsa_private_segment_fixed_size 0
		.amdhsa_kernarg_size 280
		.amdhsa_user_sgpr_count 2
		.amdhsa_user_sgpr_dispatch_ptr 0
		.amdhsa_user_sgpr_queue_ptr 0
		.amdhsa_user_sgpr_kernarg_segment_ptr 1
		.amdhsa_user_sgpr_dispatch_id 0
		.amdhsa_user_sgpr_kernarg_preload_length 0
		.amdhsa_user_sgpr_kernarg_preload_offset 0
		.amdhsa_user_sgpr_private_segment_size 0
		.amdhsa_uses_dynamic_stack 0
		.amdhsa_enable_private_segment 0
		.amdhsa_system_sgpr_workgroup_id_x 1
		.amdhsa_system_sgpr_workgroup_id_y 0
		.amdhsa_system_sgpr_workgroup_id_z 0
		.amdhsa_system_sgpr_workgroup_info 0
		.amdhsa_system_vgpr_workitem_id 0
		.amdhsa_next_free_vgpr 52
		.amdhsa_next_free_sgpr 13
		.amdhsa_accum_offset 52
		.amdhsa_reserve_vcc 1
		.amdhsa_float_round_mode_32 0
		.amdhsa_float_round_mode_16_64 0
		.amdhsa_float_denorm_mode_32 3
		.amdhsa_float_denorm_mode_16_64 3
		.amdhsa_dx10_clamp 1
		.amdhsa_ieee_mode 1
		.amdhsa_fp16_overflow 0
		.amdhsa_tg_split 0
		.amdhsa_exception_fp_ieee_invalid_op 0
		.amdhsa_exception_fp_denorm_src 0
		.amdhsa_exception_fp_ieee_div_zero 0
		.amdhsa_exception_fp_ieee_overflow 0
		.amdhsa_exception_fp_ieee_underflow 0
		.amdhsa_exception_fp_ieee_inexact 0
		.amdhsa_exception_int_div_zero 0
	.end_amdhsa_kernel
	.section	.text._Z6kernelI14exclusive_scanILN6hipcub18BlockScanAlgorithmE1EEdLj256ELj16ELj100EEvPKT0_PS4_S4_,"axG",@progbits,_Z6kernelI14exclusive_scanILN6hipcub18BlockScanAlgorithmE1EEdLj256ELj16ELj100EEvPKT0_PS4_S4_,comdat
.Lfunc_end149:
	.size	_Z6kernelI14exclusive_scanILN6hipcub18BlockScanAlgorithmE1EEdLj256ELj16ELj100EEvPKT0_PS4_S4_, .Lfunc_end149-_Z6kernelI14exclusive_scanILN6hipcub18BlockScanAlgorithmE1EEdLj256ELj16ELj100EEvPKT0_PS4_S4_
                                        ; -- End function
	.section	.AMDGPU.csdata,"",@progbits
; Kernel info:
; codeLenInByte = 1172
; NumSgprs: 19
; NumVgprs: 52
; NumAgprs: 0
; TotalNumVgprs: 52
; ScratchSize: 0
; MemoryBound: 1
; FloatMode: 240
; IeeeMode: 1
; LDSByteSize: 2112 bytes/workgroup (compile time only)
; SGPRBlocks: 2
; VGPRBlocks: 6
; NumSGPRsForWavesPerEU: 19
; NumVGPRsForWavesPerEU: 52
; AccumOffset: 52
; Occupancy: 8
; WaveLimiterHint : 0
; COMPUTE_PGM_RSRC2:SCRATCH_EN: 0
; COMPUTE_PGM_RSRC2:USER_SGPR: 2
; COMPUTE_PGM_RSRC2:TRAP_HANDLER: 0
; COMPUTE_PGM_RSRC2:TGID_X_EN: 1
; COMPUTE_PGM_RSRC2:TGID_Y_EN: 0
; COMPUTE_PGM_RSRC2:TGID_Z_EN: 0
; COMPUTE_PGM_RSRC2:TIDIG_COMP_CNT: 0
; COMPUTE_PGM_RSRC3_GFX90A:ACCUM_OFFSET: 12
; COMPUTE_PGM_RSRC3_GFX90A:TG_SPLIT: 0
	.section	.text._Z6kernelI14exclusive_scanILN6hipcub18BlockScanAlgorithmE1EEhLj256ELj1ELj100EEvPKT0_PS4_S4_,"axG",@progbits,_Z6kernelI14exclusive_scanILN6hipcub18BlockScanAlgorithmE1EEhLj256ELj1ELj100EEvPKT0_PS4_S4_,comdat
	.protected	_Z6kernelI14exclusive_scanILN6hipcub18BlockScanAlgorithmE1EEhLj256ELj1ELj100EEvPKT0_PS4_S4_ ; -- Begin function _Z6kernelI14exclusive_scanILN6hipcub18BlockScanAlgorithmE1EEhLj256ELj1ELj100EEvPKT0_PS4_S4_
	.globl	_Z6kernelI14exclusive_scanILN6hipcub18BlockScanAlgorithmE1EEhLj256ELj1ELj100EEvPKT0_PS4_S4_
	.p2align	8
	.type	_Z6kernelI14exclusive_scanILN6hipcub18BlockScanAlgorithmE1EEhLj256ELj1ELj100EEvPKT0_PS4_S4_,@function
_Z6kernelI14exclusive_scanILN6hipcub18BlockScanAlgorithmE1EEhLj256ELj1ELj100EEvPKT0_PS4_S4_: ; @_Z6kernelI14exclusive_scanILN6hipcub18BlockScanAlgorithmE1EEhLj256ELj1ELj100EEvPKT0_PS4_S4_
; %bb.0:
	s_load_dword s3, s[0:1], 0x24
	s_load_dwordx4 s[4:7], s[0:1], 0x0
	s_load_dword s10, s[0:1], 0x10
	v_lshrrev_b32_e32 v1, 5, v0
	v_lshrrev_b32_e32 v4, 3, v0
	s_waitcnt lgkmcnt(0)
	s_and_b32 s0, s3, 0xffff
	s_mul_i32 s2, s2, s0
	v_add_u32_e32 v2, s2, v0
	global_load_ubyte v5, v2, s[4:5]
	v_add_u32_e32 v1, v1, v0
	v_cmp_gt_u32_e32 vcc, 64, v0
	v_cmp_eq_u32_e64 s[0:1], 0, v0
	v_cmp_ne_u32_e64 s[2:3], 0, v0
	v_lshl_add_u32 v4, v0, 2, v4
	v_add_u32_e32 v0, -1, v0
	v_lshrrev_b32_e32 v6, 5, v0
	v_add_u32_e32 v0, v6, v0
	v_mbcnt_lo_u32_b32 v6, -1, 0
	v_mbcnt_hi_u32_b32 v6, -1, v6
	v_mov_b32_e32 v3, 0
	s_movk_i32 s11, 0x64
	v_and_b32_e32 v7, 15, v6
	v_and_b32_e32 v8, 16, v6
	v_add_u32_e32 v9, -1, v6
	v_and_b32_e32 v10, 64, v6
	s_branch .LBB150_2
.LBB150_1:                              ;   in Loop: Header=BB150_2 Depth=1
	s_or_b64 exec, exec, s[4:5]
	s_add_i32 s11, s11, -1
	s_cmp_lg_u32 s11, 0
	s_cbranch_scc0 .LBB150_6
.LBB150_2:                              ; =>This Inner Loop Header: Depth=1
	s_waitcnt vmcnt(0)
	ds_write_b8 v1, v5
	s_waitcnt lgkmcnt(0)
	s_barrier
	s_and_saveexec_b64 s[8:9], vcc
	s_cbranch_execz .LBB150_4
; %bb.3:                                ;   in Loop: Header=BB150_2 Depth=1
	ds_read_u8 v11, v4
	ds_read_u8 v12, v4 offset:1
	ds_read_u8 v13, v4 offset:2
	;; [unrolled: 1-line block ×3, first 2 shown]
	v_cmp_ne_u32_e64 s[4:5], 0, v7
	s_waitcnt lgkmcnt(2)
	v_add_u16_e32 v15, v12, v11
	s_waitcnt lgkmcnt(1)
	v_add_u16_e32 v15, v15, v13
	;; [unrolled: 2-line block ×3, first 2 shown]
	v_and_b32_e32 v16, 0xff, v15
	s_nop 1
	v_mov_b32_dpp v16, v16 row_shr:1 row_mask:0xf bank_mask:0xf
	v_cndmask_b32_e64 v16, 0, v16, s[4:5]
	v_add_u16_e32 v15, v16, v15
	v_and_b32_e32 v16, 0xff, v15
	v_cmp_lt_u32_e64 s[4:5], 1, v7
	s_nop 0
	v_mov_b32_dpp v16, v16 row_shr:2 row_mask:0xf bank_mask:0xf
	v_cndmask_b32_e64 v16, 0, v16, s[4:5]
	v_add_u16_e32 v15, v15, v16
	v_and_b32_e32 v16, 0xff, v15
	v_cmp_lt_u32_e64 s[4:5], 3, v7
	;; [unrolled: 6-line block ×3, first 2 shown]
	s_nop 0
	v_mov_b32_dpp v16, v16 row_shr:8 row_mask:0xf bank_mask:0xf
	v_cndmask_b32_e64 v16, 0, v16, s[4:5]
	v_add_u16_e32 v15, v15, v16
	v_and_b32_e32 v16, 0xff, v15
	v_cmp_ne_u32_e64 s[4:5], 0, v8
	s_nop 0
	v_mov_b32_dpp v16, v16 row_bcast:15 row_mask:0xf bank_mask:0xf
	v_cndmask_b32_e64 v16, 0, v16, s[4:5]
	v_add_u16_e32 v15, v15, v16
	v_and_b32_e32 v16, 0xff, v15
	v_cmp_lt_u32_e64 s[4:5], 31, v6
	s_nop 0
	v_mov_b32_dpp v16, v16 row_bcast:31 row_mask:0xf bank_mask:0xf
	v_cndmask_b32_e64 v16, 0, v16, s[4:5]
	v_cmp_lt_i32_e64 s[4:5], v9, v10
	v_add_u16_e32 v15, v15, v16
	v_and_b32_e32 v15, 0xff, v15
	v_cndmask_b32_e64 v16, v9, v6, s[4:5]
	v_lshlrev_b32_e32 v16, 2, v16
	ds_bpermute_b32 v15, v16, v15
	s_waitcnt lgkmcnt(0)
	v_add_u16_e32 v11, v11, v15
	v_cndmask_b32_e64 v5, v11, v5, s[0:1]
	ds_write_b8 v4, v5
	v_add_u16_e32 v5, v5, v12
	ds_write_b8 v4, v5 offset:1
	v_add_u16_e32 v5, v5, v13
	ds_write_b8 v4, v5 offset:2
	;; [unrolled: 2-line block ×3, first 2 shown]
.LBB150_4:                              ;   in Loop: Header=BB150_2 Depth=1
	s_or_b64 exec, exec, s[8:9]
	v_mov_b32_e32 v5, s10
	s_waitcnt lgkmcnt(0)
	s_barrier
	s_and_saveexec_b64 s[4:5], s[2:3]
	s_cbranch_execz .LBB150_1
; %bb.5:                                ;   in Loop: Header=BB150_2 Depth=1
	ds_read_u8 v5, v0
	s_waitcnt lgkmcnt(0)
	v_add_u16_e32 v5, s10, v5
	s_branch .LBB150_1
.LBB150_6:
	v_lshl_add_u64 v[0:1], s[6:7], 0, v[2:3]
	global_store_byte v[0:1], v5, off
	s_endpgm
	.section	.rodata,"a",@progbits
	.p2align	6, 0x0
	.amdhsa_kernel _Z6kernelI14exclusive_scanILN6hipcub18BlockScanAlgorithmE1EEhLj256ELj1ELj100EEvPKT0_PS4_S4_
		.amdhsa_group_segment_fixed_size 264
		.amdhsa_private_segment_fixed_size 0
		.amdhsa_kernarg_size 280
		.amdhsa_user_sgpr_count 2
		.amdhsa_user_sgpr_dispatch_ptr 0
		.amdhsa_user_sgpr_queue_ptr 0
		.amdhsa_user_sgpr_kernarg_segment_ptr 1
		.amdhsa_user_sgpr_dispatch_id 0
		.amdhsa_user_sgpr_kernarg_preload_length 0
		.amdhsa_user_sgpr_kernarg_preload_offset 0
		.amdhsa_user_sgpr_private_segment_size 0
		.amdhsa_uses_dynamic_stack 0
		.amdhsa_enable_private_segment 0
		.amdhsa_system_sgpr_workgroup_id_x 1
		.amdhsa_system_sgpr_workgroup_id_y 0
		.amdhsa_system_sgpr_workgroup_id_z 0
		.amdhsa_system_sgpr_workgroup_info 0
		.amdhsa_system_vgpr_workitem_id 0
		.amdhsa_next_free_vgpr 17
		.amdhsa_next_free_sgpr 12
		.amdhsa_accum_offset 20
		.amdhsa_reserve_vcc 1
		.amdhsa_float_round_mode_32 0
		.amdhsa_float_round_mode_16_64 0
		.amdhsa_float_denorm_mode_32 3
		.amdhsa_float_denorm_mode_16_64 3
		.amdhsa_dx10_clamp 1
		.amdhsa_ieee_mode 1
		.amdhsa_fp16_overflow 0
		.amdhsa_tg_split 0
		.amdhsa_exception_fp_ieee_invalid_op 0
		.amdhsa_exception_fp_denorm_src 0
		.amdhsa_exception_fp_ieee_div_zero 0
		.amdhsa_exception_fp_ieee_overflow 0
		.amdhsa_exception_fp_ieee_underflow 0
		.amdhsa_exception_fp_ieee_inexact 0
		.amdhsa_exception_int_div_zero 0
	.end_amdhsa_kernel
	.section	.text._Z6kernelI14exclusive_scanILN6hipcub18BlockScanAlgorithmE1EEhLj256ELj1ELj100EEvPKT0_PS4_S4_,"axG",@progbits,_Z6kernelI14exclusive_scanILN6hipcub18BlockScanAlgorithmE1EEhLj256ELj1ELj100EEvPKT0_PS4_S4_,comdat
.Lfunc_end150:
	.size	_Z6kernelI14exclusive_scanILN6hipcub18BlockScanAlgorithmE1EEhLj256ELj1ELj100EEvPKT0_PS4_S4_, .Lfunc_end150-_Z6kernelI14exclusive_scanILN6hipcub18BlockScanAlgorithmE1EEhLj256ELj1ELj100EEvPKT0_PS4_S4_
                                        ; -- End function
	.section	.AMDGPU.csdata,"",@progbits
; Kernel info:
; codeLenInByte = 648
; NumSgprs: 18
; NumVgprs: 17
; NumAgprs: 0
; TotalNumVgprs: 17
; ScratchSize: 0
; MemoryBound: 0
; FloatMode: 240
; IeeeMode: 1
; LDSByteSize: 264 bytes/workgroup (compile time only)
; SGPRBlocks: 2
; VGPRBlocks: 2
; NumSGPRsForWavesPerEU: 18
; NumVGPRsForWavesPerEU: 17
; AccumOffset: 20
; Occupancy: 8
; WaveLimiterHint : 0
; COMPUTE_PGM_RSRC2:SCRATCH_EN: 0
; COMPUTE_PGM_RSRC2:USER_SGPR: 2
; COMPUTE_PGM_RSRC2:TRAP_HANDLER: 0
; COMPUTE_PGM_RSRC2:TGID_X_EN: 1
; COMPUTE_PGM_RSRC2:TGID_Y_EN: 0
; COMPUTE_PGM_RSRC2:TGID_Z_EN: 0
; COMPUTE_PGM_RSRC2:TIDIG_COMP_CNT: 0
; COMPUTE_PGM_RSRC3_GFX90A:ACCUM_OFFSET: 4
; COMPUTE_PGM_RSRC3_GFX90A:TG_SPLIT: 0
	.section	.text._Z6kernelI14exclusive_scanILN6hipcub18BlockScanAlgorithmE1EEhLj256ELj3ELj100EEvPKT0_PS4_S4_,"axG",@progbits,_Z6kernelI14exclusive_scanILN6hipcub18BlockScanAlgorithmE1EEhLj256ELj3ELj100EEvPKT0_PS4_S4_,comdat
	.protected	_Z6kernelI14exclusive_scanILN6hipcub18BlockScanAlgorithmE1EEhLj256ELj3ELj100EEvPKT0_PS4_S4_ ; -- Begin function _Z6kernelI14exclusive_scanILN6hipcub18BlockScanAlgorithmE1EEhLj256ELj3ELj100EEvPKT0_PS4_S4_
	.globl	_Z6kernelI14exclusive_scanILN6hipcub18BlockScanAlgorithmE1EEhLj256ELj3ELj100EEvPKT0_PS4_S4_
	.p2align	8
	.type	_Z6kernelI14exclusive_scanILN6hipcub18BlockScanAlgorithmE1EEhLj256ELj3ELj100EEvPKT0_PS4_S4_,@function
_Z6kernelI14exclusive_scanILN6hipcub18BlockScanAlgorithmE1EEhLj256ELj3ELj100EEvPKT0_PS4_S4_: ; @_Z6kernelI14exclusive_scanILN6hipcub18BlockScanAlgorithmE1EEhLj256ELj3ELj100EEvPKT0_PS4_S4_
; %bb.0:
	s_load_dword s3, s[0:1], 0x24
	s_load_dwordx4 s[4:7], s[0:1], 0x0
	s_load_dword s10, s[0:1], 0x10
	v_add_u32_e32 v12, -1, v0
	v_mov_b32_e32 v3, 0
	s_waitcnt lgkmcnt(0)
	s_and_b32 s0, s3, 0xffff
	s_mul_i32 s2, s2, s0
	v_add_u32_e32 v1, s2, v0
	v_lshl_add_u32 v2, v1, 1, v1
	v_add_u32_e32 v4, 1, v2
	global_load_ubyte v13, v4, s[4:5]
	global_load_ubyte v14, v2, s[4:5]
	v_add_u32_e32 v6, 2, v2
	global_load_ubyte v15, v6, s[4:5]
	v_mbcnt_lo_u32_b32 v1, -1, 0
	v_lshrrev_b32_e32 v8, 5, v0
	v_lshrrev_b32_e32 v9, 3, v0
	v_mbcnt_hi_u32_b32 v1, -1, v1
	v_lshrrev_b32_e32 v16, 5, v12
	s_movk_i32 s11, 0x64
	v_mov_b32_e32 v5, v3
	v_mov_b32_e32 v7, v3
	v_cmp_gt_u32_e32 vcc, 64, v0
	v_cmp_eq_u32_e64 s[0:1], 0, v0
	v_cmp_ne_u32_e64 s[2:3], 0, v0
	v_add_u32_e32 v8, v8, v0
	v_lshl_add_u32 v0, v0, 2, v9
	v_and_b32_e32 v9, 15, v1
	v_and_b32_e32 v10, 16, v1
	v_add_u32_e32 v11, -1, v1
	v_add_u32_e32 v12, v16, v12
	s_waitcnt vmcnt(2)
	v_lshlrev_b16_e32 v13, 8, v13
	s_waitcnt vmcnt(1)
	v_or_b32_e32 v13, v14, v13
	v_and_b32_e32 v13, 0xffff, v13
	s_waitcnt vmcnt(0)
	v_lshl_or_b32 v14, v15, 16, v13
	v_and_b32_e32 v13, 64, v1
	s_branch .LBB151_2
.LBB151_1:                              ;   in Loop: Header=BB151_2 Depth=1
	s_or_b64 exec, exec, s[4:5]
	v_add_u16_e32 v17, v16, v14
	v_add_u16_e32 v15, v17, v15
	v_lshlrev_b16_e32 v14, 8, v17
	v_and_b32_e32 v18, 0xff, v15
	v_or_b32_sdwa v14, v16, v14 dst_sel:DWORD dst_unused:UNUSED_PAD src0_sel:BYTE_0 src1_sel:DWORD
	v_lshlrev_b32_e32 v18, 16, v18
	s_add_i32 s11, s11, -1
	s_cmp_lg_u32 s11, 0
	v_or_b32_sdwa v14, v14, v18 dst_sel:DWORD dst_unused:UNUSED_PAD src0_sel:WORD_0 src1_sel:DWORD
	s_cbranch_scc0 .LBB151_6
.LBB151_2:                              ; =>This Inner Loop Header: Depth=1
	v_lshrrev_b32_e32 v15, 8, v14
	v_add_u16_e32 v16, v15, v14
	v_add_u16_sdwa v16, v16, v14 dst_sel:DWORD dst_unused:UNUSED_PAD src0_sel:DWORD src1_sel:WORD_1
	ds_write_b8 v8, v16
	s_waitcnt lgkmcnt(0)
	s_barrier
	s_and_saveexec_b64 s[8:9], vcc
	s_cbranch_execz .LBB151_4
; %bb.3:                                ;   in Loop: Header=BB151_2 Depth=1
	ds_read_u8 v17, v0
	ds_read_u8 v18, v0 offset:1
	ds_read_u8 v19, v0 offset:2
	;; [unrolled: 1-line block ×3, first 2 shown]
	v_cmp_ne_u32_e64 s[4:5], 0, v9
	s_waitcnt lgkmcnt(2)
	v_add_u16_e32 v21, v18, v17
	s_waitcnt lgkmcnt(1)
	v_add_u16_e32 v21, v21, v19
	;; [unrolled: 2-line block ×3, first 2 shown]
	v_and_b32_e32 v22, 0xff, v21
	s_nop 1
	v_mov_b32_dpp v22, v22 row_shr:1 row_mask:0xf bank_mask:0xf
	v_cndmask_b32_e64 v22, 0, v22, s[4:5]
	v_add_u16_e32 v21, v22, v21
	v_and_b32_e32 v22, 0xff, v21
	v_cmp_lt_u32_e64 s[4:5], 1, v9
	s_nop 0
	v_mov_b32_dpp v22, v22 row_shr:2 row_mask:0xf bank_mask:0xf
	v_cndmask_b32_e64 v22, 0, v22, s[4:5]
	v_add_u16_e32 v21, v21, v22
	v_and_b32_e32 v22, 0xff, v21
	v_cmp_lt_u32_e64 s[4:5], 3, v9
	;; [unrolled: 6-line block ×3, first 2 shown]
	s_nop 0
	v_mov_b32_dpp v22, v22 row_shr:8 row_mask:0xf bank_mask:0xf
	v_cndmask_b32_e64 v22, 0, v22, s[4:5]
	v_add_u16_e32 v21, v21, v22
	v_and_b32_e32 v22, 0xff, v21
	v_cmp_ne_u32_e64 s[4:5], 0, v10
	s_nop 0
	v_mov_b32_dpp v22, v22 row_bcast:15 row_mask:0xf bank_mask:0xf
	v_cndmask_b32_e64 v22, 0, v22, s[4:5]
	v_add_u16_e32 v21, v21, v22
	v_and_b32_e32 v22, 0xff, v21
	v_cmp_lt_u32_e64 s[4:5], 31, v1
	s_nop 0
	v_mov_b32_dpp v22, v22 row_bcast:31 row_mask:0xf bank_mask:0xf
	v_cndmask_b32_e64 v22, 0, v22, s[4:5]
	v_cmp_lt_i32_e64 s[4:5], v11, v13
	v_add_u16_e32 v21, v21, v22
	v_and_b32_e32 v21, 0xff, v21
	v_cndmask_b32_e64 v22, v11, v1, s[4:5]
	v_lshlrev_b32_e32 v22, 2, v22
	ds_bpermute_b32 v21, v22, v21
	s_waitcnt lgkmcnt(0)
	v_add_u16_e32 v17, v17, v21
	v_cndmask_b32_e64 v16, v17, v16, s[0:1]
	ds_write_b8 v0, v16
	v_add_u16_e32 v16, v16, v18
	ds_write_b8 v0, v16 offset:1
	v_add_u16_e32 v16, v16, v19
	ds_write_b8 v0, v16 offset:2
	;; [unrolled: 2-line block ×3, first 2 shown]
.LBB151_4:                              ;   in Loop: Header=BB151_2 Depth=1
	s_or_b64 exec, exec, s[8:9]
	v_mov_b32_e32 v16, s10
	s_waitcnt lgkmcnt(0)
	s_barrier
	s_and_saveexec_b64 s[4:5], s[2:3]
	s_cbranch_execz .LBB151_1
; %bb.5:                                ;   in Loop: Header=BB151_2 Depth=1
	ds_read_u8 v16, v12
	s_waitcnt lgkmcnt(0)
	v_add_u16_e32 v16, s10, v16
	s_branch .LBB151_1
.LBB151_6:
	v_lshl_add_u64 v[0:1], s[6:7], 0, v[2:3]
	global_store_byte v[0:1], v16, off
	v_lshl_add_u64 v[0:1], s[6:7], 0, v[4:5]
	global_store_byte v[0:1], v17, off
	;; [unrolled: 2-line block ×3, first 2 shown]
	s_endpgm
	.section	.rodata,"a",@progbits
	.p2align	6, 0x0
	.amdhsa_kernel _Z6kernelI14exclusive_scanILN6hipcub18BlockScanAlgorithmE1EEhLj256ELj3ELj100EEvPKT0_PS4_S4_
		.amdhsa_group_segment_fixed_size 264
		.amdhsa_private_segment_fixed_size 0
		.amdhsa_kernarg_size 280
		.amdhsa_user_sgpr_count 2
		.amdhsa_user_sgpr_dispatch_ptr 0
		.amdhsa_user_sgpr_queue_ptr 0
		.amdhsa_user_sgpr_kernarg_segment_ptr 1
		.amdhsa_user_sgpr_dispatch_id 0
		.amdhsa_user_sgpr_kernarg_preload_length 0
		.amdhsa_user_sgpr_kernarg_preload_offset 0
		.amdhsa_user_sgpr_private_segment_size 0
		.amdhsa_uses_dynamic_stack 0
		.amdhsa_enable_private_segment 0
		.amdhsa_system_sgpr_workgroup_id_x 1
		.amdhsa_system_sgpr_workgroup_id_y 0
		.amdhsa_system_sgpr_workgroup_id_z 0
		.amdhsa_system_sgpr_workgroup_info 0
		.amdhsa_system_vgpr_workitem_id 0
		.amdhsa_next_free_vgpr 23
		.amdhsa_next_free_sgpr 12
		.amdhsa_accum_offset 24
		.amdhsa_reserve_vcc 1
		.amdhsa_float_round_mode_32 0
		.amdhsa_float_round_mode_16_64 0
		.amdhsa_float_denorm_mode_32 3
		.amdhsa_float_denorm_mode_16_64 3
		.amdhsa_dx10_clamp 1
		.amdhsa_ieee_mode 1
		.amdhsa_fp16_overflow 0
		.amdhsa_tg_split 0
		.amdhsa_exception_fp_ieee_invalid_op 0
		.amdhsa_exception_fp_denorm_src 0
		.amdhsa_exception_fp_ieee_div_zero 0
		.amdhsa_exception_fp_ieee_overflow 0
		.amdhsa_exception_fp_ieee_underflow 0
		.amdhsa_exception_fp_ieee_inexact 0
		.amdhsa_exception_int_div_zero 0
	.end_amdhsa_kernel
	.section	.text._Z6kernelI14exclusive_scanILN6hipcub18BlockScanAlgorithmE1EEhLj256ELj3ELj100EEvPKT0_PS4_S4_,"axG",@progbits,_Z6kernelI14exclusive_scanILN6hipcub18BlockScanAlgorithmE1EEhLj256ELj3ELj100EEvPKT0_PS4_S4_,comdat
.Lfunc_end151:
	.size	_Z6kernelI14exclusive_scanILN6hipcub18BlockScanAlgorithmE1EEhLj256ELj3ELj100EEvPKT0_PS4_S4_, .Lfunc_end151-_Z6kernelI14exclusive_scanILN6hipcub18BlockScanAlgorithmE1EEhLj256ELj3ELj100EEvPKT0_PS4_S4_
                                        ; -- End function
	.section	.AMDGPU.csdata,"",@progbits
; Kernel info:
; codeLenInByte = 808
; NumSgprs: 18
; NumVgprs: 23
; NumAgprs: 0
; TotalNumVgprs: 23
; ScratchSize: 0
; MemoryBound: 0
; FloatMode: 240
; IeeeMode: 1
; LDSByteSize: 264 bytes/workgroup (compile time only)
; SGPRBlocks: 2
; VGPRBlocks: 2
; NumSGPRsForWavesPerEU: 18
; NumVGPRsForWavesPerEU: 23
; AccumOffset: 24
; Occupancy: 8
; WaveLimiterHint : 0
; COMPUTE_PGM_RSRC2:SCRATCH_EN: 0
; COMPUTE_PGM_RSRC2:USER_SGPR: 2
; COMPUTE_PGM_RSRC2:TRAP_HANDLER: 0
; COMPUTE_PGM_RSRC2:TGID_X_EN: 1
; COMPUTE_PGM_RSRC2:TGID_Y_EN: 0
; COMPUTE_PGM_RSRC2:TGID_Z_EN: 0
; COMPUTE_PGM_RSRC2:TIDIG_COMP_CNT: 0
; COMPUTE_PGM_RSRC3_GFX90A:ACCUM_OFFSET: 5
; COMPUTE_PGM_RSRC3_GFX90A:TG_SPLIT: 0
	.section	.text._Z6kernelI14exclusive_scanILN6hipcub18BlockScanAlgorithmE1EEhLj256ELj4ELj100EEvPKT0_PS4_S4_,"axG",@progbits,_Z6kernelI14exclusive_scanILN6hipcub18BlockScanAlgorithmE1EEhLj256ELj4ELj100EEvPKT0_PS4_S4_,comdat
	.protected	_Z6kernelI14exclusive_scanILN6hipcub18BlockScanAlgorithmE1EEhLj256ELj4ELj100EEvPKT0_PS4_S4_ ; -- Begin function _Z6kernelI14exclusive_scanILN6hipcub18BlockScanAlgorithmE1EEhLj256ELj4ELj100EEvPKT0_PS4_S4_
	.globl	_Z6kernelI14exclusive_scanILN6hipcub18BlockScanAlgorithmE1EEhLj256ELj4ELj100EEvPKT0_PS4_S4_
	.p2align	8
	.type	_Z6kernelI14exclusive_scanILN6hipcub18BlockScanAlgorithmE1EEhLj256ELj4ELj100EEvPKT0_PS4_S4_,@function
_Z6kernelI14exclusive_scanILN6hipcub18BlockScanAlgorithmE1EEhLj256ELj4ELj100EEvPKT0_PS4_S4_: ; @_Z6kernelI14exclusive_scanILN6hipcub18BlockScanAlgorithmE1EEhLj256ELj4ELj100EEvPKT0_PS4_S4_
; %bb.0:
	s_load_dword s3, s[0:1], 0x24
	s_load_dwordx4 s[4:7], s[0:1], 0x0
	s_load_dword s10, s[0:1], 0x10
	v_lshrrev_b32_e32 v1, 5, v0
	v_lshrrev_b32_e32 v4, 3, v0
	s_waitcnt lgkmcnt(0)
	s_and_b32 s0, s3, 0xffff
	s_mul_i32 s2, s2, s0
	v_add_lshl_u32 v2, s2, v0, 2
	global_load_dword v5, v2, s[4:5]
	v_add_u32_e32 v1, v1, v0
	v_cmp_gt_u32_e32 vcc, 64, v0
	v_cmp_eq_u32_e64 s[0:1], 0, v0
	v_cmp_ne_u32_e64 s[2:3], 0, v0
	v_lshl_add_u32 v4, v0, 2, v4
	v_add_u32_e32 v0, -1, v0
	v_lshrrev_b32_e32 v6, 5, v0
	v_add_u32_e32 v0, v6, v0
	v_mbcnt_lo_u32_b32 v6, -1, 0
	v_mbcnt_hi_u32_b32 v6, -1, v6
	v_mov_b32_e32 v3, 0
	s_movk_i32 s11, 0x64
	v_and_b32_e32 v7, 15, v6
	v_and_b32_e32 v8, 16, v6
	v_add_u32_e32 v9, -1, v6
	v_and_b32_e32 v10, 64, v6
	s_branch .LBB152_2
.LBB152_1:                              ;   in Loop: Header=BB152_2 Depth=1
	s_or_b64 exec, exec, s[4:5]
	v_add_u16_e32 v13, v12, v5
	v_add_u16_e32 v14, v13, v11
	v_add_u16_sdwa v5, v14, v5 dst_sel:DWORD dst_unused:UNUSED_PAD src0_sel:DWORD src1_sel:WORD_1
	v_lshlrev_b16_e32 v11, 8, v13
	v_lshlrev_b16_e32 v5, 8, v5
	v_or_b32_sdwa v15, v12, v11 dst_sel:DWORD dst_unused:UNUSED_PAD src0_sel:BYTE_0 src1_sel:DWORD
	v_or_b32_sdwa v13, v14, v5 dst_sel:WORD_1 dst_unused:UNUSED_PAD src0_sel:BYTE_0 src1_sel:DWORD
	s_add_i32 s11, s11, -1
	s_cmp_lg_u32 s11, 0
	v_or_b32_sdwa v5, v15, v13 dst_sel:DWORD dst_unused:UNUSED_PAD src0_sel:WORD_0 src1_sel:DWORD
	s_cbranch_scc0 .LBB152_6
.LBB152_2:                              ; =>This Inner Loop Header: Depth=1
	s_waitcnt vmcnt(0)
	v_lshrrev_b32_e32 v11, 8, v5
	v_add_u16_e32 v12, v11, v5
	v_add_u16_sdwa v12, v12, v5 dst_sel:DWORD dst_unused:UNUSED_PAD src0_sel:DWORD src1_sel:WORD_1
	v_add_u16_sdwa v12, v12, v5 dst_sel:DWORD dst_unused:UNUSED_PAD src0_sel:DWORD src1_sel:BYTE_3
	ds_write_b8 v1, v12
	s_waitcnt lgkmcnt(0)
	s_barrier
	s_and_saveexec_b64 s[8:9], vcc
	s_cbranch_execz .LBB152_4
; %bb.3:                                ;   in Loop: Header=BB152_2 Depth=1
	ds_read_u8 v13, v4
	ds_read_u8 v14, v4 offset:1
	ds_read_u8 v15, v4 offset:2
	;; [unrolled: 1-line block ×3, first 2 shown]
	v_cmp_ne_u32_e64 s[4:5], 0, v7
	s_waitcnt lgkmcnt(2)
	v_add_u16_e32 v17, v14, v13
	s_waitcnt lgkmcnt(1)
	v_add_u16_e32 v17, v17, v15
	;; [unrolled: 2-line block ×3, first 2 shown]
	v_and_b32_e32 v18, 0xff, v17
	s_nop 1
	v_mov_b32_dpp v18, v18 row_shr:1 row_mask:0xf bank_mask:0xf
	v_cndmask_b32_e64 v18, 0, v18, s[4:5]
	v_add_u16_e32 v17, v18, v17
	v_and_b32_e32 v18, 0xff, v17
	v_cmp_lt_u32_e64 s[4:5], 1, v7
	s_nop 0
	v_mov_b32_dpp v18, v18 row_shr:2 row_mask:0xf bank_mask:0xf
	v_cndmask_b32_e64 v18, 0, v18, s[4:5]
	v_add_u16_e32 v17, v17, v18
	v_and_b32_e32 v18, 0xff, v17
	v_cmp_lt_u32_e64 s[4:5], 3, v7
	;; [unrolled: 6-line block ×3, first 2 shown]
	s_nop 0
	v_mov_b32_dpp v18, v18 row_shr:8 row_mask:0xf bank_mask:0xf
	v_cndmask_b32_e64 v18, 0, v18, s[4:5]
	v_add_u16_e32 v17, v17, v18
	v_and_b32_e32 v18, 0xff, v17
	v_cmp_ne_u32_e64 s[4:5], 0, v8
	s_nop 0
	v_mov_b32_dpp v18, v18 row_bcast:15 row_mask:0xf bank_mask:0xf
	v_cndmask_b32_e64 v18, 0, v18, s[4:5]
	v_add_u16_e32 v17, v17, v18
	v_and_b32_e32 v18, 0xff, v17
	v_cmp_lt_u32_e64 s[4:5], 31, v6
	s_nop 0
	v_mov_b32_dpp v18, v18 row_bcast:31 row_mask:0xf bank_mask:0xf
	v_cndmask_b32_e64 v18, 0, v18, s[4:5]
	v_cmp_lt_i32_e64 s[4:5], v9, v10
	v_add_u16_e32 v17, v17, v18
	v_and_b32_e32 v17, 0xff, v17
	v_cndmask_b32_e64 v18, v9, v6, s[4:5]
	v_lshlrev_b32_e32 v18, 2, v18
	ds_bpermute_b32 v17, v18, v17
	s_waitcnt lgkmcnt(0)
	v_add_u16_e32 v13, v13, v17
	v_cndmask_b32_e64 v12, v13, v12, s[0:1]
	ds_write_b8 v4, v12
	v_add_u16_e32 v12, v12, v14
	ds_write_b8 v4, v12 offset:1
	v_add_u16_e32 v12, v12, v15
	ds_write_b8 v4, v12 offset:2
	;; [unrolled: 2-line block ×3, first 2 shown]
.LBB152_4:                              ;   in Loop: Header=BB152_2 Depth=1
	s_or_b64 exec, exec, s[8:9]
	v_mov_b32_e32 v12, s10
	s_waitcnt lgkmcnt(0)
	s_barrier
	s_and_saveexec_b64 s[4:5], s[2:3]
	s_cbranch_execz .LBB152_1
; %bb.5:                                ;   in Loop: Header=BB152_2 Depth=1
	ds_read_u8 v12, v0
	s_waitcnt lgkmcnt(0)
	v_add_u16_e32 v12, s10, v12
	s_branch .LBB152_1
.LBB152_6:
	v_lshl_add_u64 v[0:1], s[6:7], 0, v[2:3]
	v_or_b32_sdwa v2, v12, v11 dst_sel:DWORD dst_unused:UNUSED_PAD src0_sel:BYTE_0 src1_sel:DWORD
	v_or_b32_sdwa v2, v2, v13 dst_sel:DWORD dst_unused:UNUSED_PAD src0_sel:WORD_0 src1_sel:DWORD
	global_store_dword v[0:1], v2, off
	s_endpgm
	.section	.rodata,"a",@progbits
	.p2align	6, 0x0
	.amdhsa_kernel _Z6kernelI14exclusive_scanILN6hipcub18BlockScanAlgorithmE1EEhLj256ELj4ELj100EEvPKT0_PS4_S4_
		.amdhsa_group_segment_fixed_size 264
		.amdhsa_private_segment_fixed_size 0
		.amdhsa_kernarg_size 280
		.amdhsa_user_sgpr_count 2
		.amdhsa_user_sgpr_dispatch_ptr 0
		.amdhsa_user_sgpr_queue_ptr 0
		.amdhsa_user_sgpr_kernarg_segment_ptr 1
		.amdhsa_user_sgpr_dispatch_id 0
		.amdhsa_user_sgpr_kernarg_preload_length 0
		.amdhsa_user_sgpr_kernarg_preload_offset 0
		.amdhsa_user_sgpr_private_segment_size 0
		.amdhsa_uses_dynamic_stack 0
		.amdhsa_enable_private_segment 0
		.amdhsa_system_sgpr_workgroup_id_x 1
		.amdhsa_system_sgpr_workgroup_id_y 0
		.amdhsa_system_sgpr_workgroup_id_z 0
		.amdhsa_system_sgpr_workgroup_info 0
		.amdhsa_system_vgpr_workitem_id 0
		.amdhsa_next_free_vgpr 19
		.amdhsa_next_free_sgpr 12
		.amdhsa_accum_offset 20
		.amdhsa_reserve_vcc 1
		.amdhsa_float_round_mode_32 0
		.amdhsa_float_round_mode_16_64 0
		.amdhsa_float_denorm_mode_32 3
		.amdhsa_float_denorm_mode_16_64 3
		.amdhsa_dx10_clamp 1
		.amdhsa_ieee_mode 1
		.amdhsa_fp16_overflow 0
		.amdhsa_tg_split 0
		.amdhsa_exception_fp_ieee_invalid_op 0
		.amdhsa_exception_fp_denorm_src 0
		.amdhsa_exception_fp_ieee_div_zero 0
		.amdhsa_exception_fp_ieee_overflow 0
		.amdhsa_exception_fp_ieee_underflow 0
		.amdhsa_exception_fp_ieee_inexact 0
		.amdhsa_exception_int_div_zero 0
	.end_amdhsa_kernel
	.section	.text._Z6kernelI14exclusive_scanILN6hipcub18BlockScanAlgorithmE1EEhLj256ELj4ELj100EEvPKT0_PS4_S4_,"axG",@progbits,_Z6kernelI14exclusive_scanILN6hipcub18BlockScanAlgorithmE1EEhLj256ELj4ELj100EEvPKT0_PS4_S4_,comdat
.Lfunc_end152:
	.size	_Z6kernelI14exclusive_scanILN6hipcub18BlockScanAlgorithmE1EEhLj256ELj4ELj100EEvPKT0_PS4_S4_, .Lfunc_end152-_Z6kernelI14exclusive_scanILN6hipcub18BlockScanAlgorithmE1EEhLj256ELj4ELj100EEvPKT0_PS4_S4_
                                        ; -- End function
	.section	.AMDGPU.csdata,"",@progbits
; Kernel info:
; codeLenInByte = 740
; NumSgprs: 18
; NumVgprs: 19
; NumAgprs: 0
; TotalNumVgprs: 19
; ScratchSize: 0
; MemoryBound: 0
; FloatMode: 240
; IeeeMode: 1
; LDSByteSize: 264 bytes/workgroup (compile time only)
; SGPRBlocks: 2
; VGPRBlocks: 2
; NumSGPRsForWavesPerEU: 18
; NumVGPRsForWavesPerEU: 19
; AccumOffset: 20
; Occupancy: 8
; WaveLimiterHint : 0
; COMPUTE_PGM_RSRC2:SCRATCH_EN: 0
; COMPUTE_PGM_RSRC2:USER_SGPR: 2
; COMPUTE_PGM_RSRC2:TRAP_HANDLER: 0
; COMPUTE_PGM_RSRC2:TGID_X_EN: 1
; COMPUTE_PGM_RSRC2:TGID_Y_EN: 0
; COMPUTE_PGM_RSRC2:TGID_Z_EN: 0
; COMPUTE_PGM_RSRC2:TIDIG_COMP_CNT: 0
; COMPUTE_PGM_RSRC3_GFX90A:ACCUM_OFFSET: 4
; COMPUTE_PGM_RSRC3_GFX90A:TG_SPLIT: 0
	.section	.text._Z6kernelI14exclusive_scanILN6hipcub18BlockScanAlgorithmE1EEhLj256ELj8ELj100EEvPKT0_PS4_S4_,"axG",@progbits,_Z6kernelI14exclusive_scanILN6hipcub18BlockScanAlgorithmE1EEhLj256ELj8ELj100EEvPKT0_PS4_S4_,comdat
	.protected	_Z6kernelI14exclusive_scanILN6hipcub18BlockScanAlgorithmE1EEhLj256ELj8ELj100EEvPKT0_PS4_S4_ ; -- Begin function _Z6kernelI14exclusive_scanILN6hipcub18BlockScanAlgorithmE1EEhLj256ELj8ELj100EEvPKT0_PS4_S4_
	.globl	_Z6kernelI14exclusive_scanILN6hipcub18BlockScanAlgorithmE1EEhLj256ELj8ELj100EEvPKT0_PS4_S4_
	.p2align	8
	.type	_Z6kernelI14exclusive_scanILN6hipcub18BlockScanAlgorithmE1EEhLj256ELj8ELj100EEvPKT0_PS4_S4_,@function
_Z6kernelI14exclusive_scanILN6hipcub18BlockScanAlgorithmE1EEhLj256ELj8ELj100EEvPKT0_PS4_S4_: ; @_Z6kernelI14exclusive_scanILN6hipcub18BlockScanAlgorithmE1EEhLj256ELj8ELj100EEvPKT0_PS4_S4_
; %bb.0:
	s_load_dword s3, s[0:1], 0x24
	s_load_dwordx4 s[4:7], s[0:1], 0x0
	s_load_dword s10, s[0:1], 0x10
	v_lshrrev_b32_e32 v1, 5, v0
	v_lshrrev_b32_e32 v6, 3, v0
	s_waitcnt lgkmcnt(0)
	s_and_b32 s0, s3, 0xffff
	s_mul_i32 s2, s2, s0
	v_add_lshl_u32 v2, s2, v0, 3
	global_load_dwordx2 v[4:5], v2, s[4:5]
	v_add_u32_e32 v1, v1, v0
	v_cmp_gt_u32_e32 vcc, 64, v0
	v_cmp_eq_u32_e64 s[0:1], 0, v0
	v_cmp_ne_u32_e64 s[2:3], 0, v0
	v_lshl_add_u32 v6, v0, 2, v6
	v_add_u32_e32 v0, -1, v0
	v_lshrrev_b32_e32 v7, 5, v0
	v_add_u32_e32 v0, v7, v0
	v_mbcnt_lo_u32_b32 v7, -1, 0
	v_mbcnt_hi_u32_b32 v7, -1, v7
	v_mov_b32_e32 v3, 0
	s_movk_i32 s11, 0x64
	v_and_b32_e32 v8, 15, v7
	v_and_b32_e32 v9, 16, v7
	v_add_u32_e32 v10, -1, v7
	v_and_b32_e32 v11, 64, v7
	s_branch .LBB153_2
.LBB153_1:                              ;   in Loop: Header=BB153_2 Depth=1
	s_or_b64 exec, exec, s[4:5]
	v_add_u16_e32 v15, v14, v4
	v_add_u16_e32 v16, v15, v12
	v_add_u16_sdwa v17, v16, v4 dst_sel:DWORD dst_unused:UNUSED_PAD src0_sel:DWORD src1_sel:WORD_1
	v_add_u16_sdwa v18, v17, v4 dst_sel:DWORD dst_unused:UNUSED_PAD src0_sel:DWORD src1_sel:BYTE_3
	v_add_u16_e32 v19, v18, v5
	v_add_u16_e32 v20, v19, v13
	v_add_u16_sdwa v5, v20, v5 dst_sel:DWORD dst_unused:UNUSED_PAD src0_sel:DWORD src1_sel:WORD_1
	v_lshlrev_b16_e32 v12, 8, v15
	v_lshlrev_b16_e32 v13, 8, v17
	;; [unrolled: 1-line block ×4, first 2 shown]
	v_or_b32_sdwa v4, v14, v12 dst_sel:DWORD dst_unused:UNUSED_PAD src0_sel:BYTE_0 src1_sel:DWORD
	v_or_b32_sdwa v13, v16, v13 dst_sel:WORD_1 dst_unused:UNUSED_PAD src0_sel:BYTE_0 src1_sel:DWORD
	v_or_b32_sdwa v15, v18, v15 dst_sel:DWORD dst_unused:UNUSED_PAD src0_sel:BYTE_0 src1_sel:DWORD
	v_or_b32_sdwa v16, v20, v5 dst_sel:WORD_1 dst_unused:UNUSED_PAD src0_sel:BYTE_0 src1_sel:DWORD
	s_add_i32 s11, s11, -1
	v_or_b32_sdwa v4, v4, v13 dst_sel:DWORD dst_unused:UNUSED_PAD src0_sel:WORD_0 src1_sel:DWORD
	s_cmp_lg_u32 s11, 0
	v_or_b32_sdwa v5, v15, v16 dst_sel:DWORD dst_unused:UNUSED_PAD src0_sel:WORD_0 src1_sel:DWORD
	s_cbranch_scc0 .LBB153_6
.LBB153_2:                              ; =>This Inner Loop Header: Depth=1
	s_waitcnt vmcnt(0)
	v_lshrrev_b32_e32 v12, 8, v4
	v_add_u16_e32 v13, v12, v4
	v_add_u16_sdwa v13, v13, v4 dst_sel:DWORD dst_unused:UNUSED_PAD src0_sel:DWORD src1_sel:WORD_1
	v_add_u16_sdwa v13, v13, v4 dst_sel:DWORD dst_unused:UNUSED_PAD src0_sel:DWORD src1_sel:BYTE_3
	v_add_u16_e32 v14, v13, v5
	v_lshrrev_b32_e32 v13, 8, v5
	v_add_u16_e32 v14, v14, v13
	v_add_u16_sdwa v14, v14, v5 dst_sel:DWORD dst_unused:UNUSED_PAD src0_sel:DWORD src1_sel:WORD_1
	v_add_u16_sdwa v14, v14, v5 dst_sel:DWORD dst_unused:UNUSED_PAD src0_sel:DWORD src1_sel:BYTE_3
	ds_write_b8 v1, v14
	s_waitcnt lgkmcnt(0)
	s_barrier
	s_and_saveexec_b64 s[8:9], vcc
	s_cbranch_execz .LBB153_4
; %bb.3:                                ;   in Loop: Header=BB153_2 Depth=1
	ds_read_u8 v15, v6
	ds_read_u8 v16, v6 offset:1
	ds_read_u8 v17, v6 offset:2
	;; [unrolled: 1-line block ×3, first 2 shown]
	v_cmp_ne_u32_e64 s[4:5], 0, v8
	s_waitcnt lgkmcnt(2)
	v_add_u16_e32 v19, v16, v15
	s_waitcnt lgkmcnt(1)
	v_add_u16_e32 v19, v19, v17
	;; [unrolled: 2-line block ×3, first 2 shown]
	v_and_b32_e32 v20, 0xff, v19
	s_nop 1
	v_mov_b32_dpp v20, v20 row_shr:1 row_mask:0xf bank_mask:0xf
	v_cndmask_b32_e64 v20, 0, v20, s[4:5]
	v_add_u16_e32 v19, v20, v19
	v_and_b32_e32 v20, 0xff, v19
	v_cmp_lt_u32_e64 s[4:5], 1, v8
	s_nop 0
	v_mov_b32_dpp v20, v20 row_shr:2 row_mask:0xf bank_mask:0xf
	v_cndmask_b32_e64 v20, 0, v20, s[4:5]
	v_add_u16_e32 v19, v19, v20
	v_and_b32_e32 v20, 0xff, v19
	v_cmp_lt_u32_e64 s[4:5], 3, v8
	;; [unrolled: 6-line block ×3, first 2 shown]
	s_nop 0
	v_mov_b32_dpp v20, v20 row_shr:8 row_mask:0xf bank_mask:0xf
	v_cndmask_b32_e64 v20, 0, v20, s[4:5]
	v_add_u16_e32 v19, v19, v20
	v_and_b32_e32 v20, 0xff, v19
	v_cmp_ne_u32_e64 s[4:5], 0, v9
	s_nop 0
	v_mov_b32_dpp v20, v20 row_bcast:15 row_mask:0xf bank_mask:0xf
	v_cndmask_b32_e64 v20, 0, v20, s[4:5]
	v_add_u16_e32 v19, v19, v20
	v_and_b32_e32 v20, 0xff, v19
	v_cmp_lt_u32_e64 s[4:5], 31, v7
	s_nop 0
	v_mov_b32_dpp v20, v20 row_bcast:31 row_mask:0xf bank_mask:0xf
	v_cndmask_b32_e64 v20, 0, v20, s[4:5]
	v_cmp_lt_i32_e64 s[4:5], v10, v11
	v_add_u16_e32 v19, v19, v20
	v_and_b32_e32 v19, 0xff, v19
	v_cndmask_b32_e64 v20, v10, v7, s[4:5]
	v_lshlrev_b32_e32 v20, 2, v20
	ds_bpermute_b32 v19, v20, v19
	s_waitcnt lgkmcnt(0)
	v_add_u16_e32 v15, v15, v19
	v_cndmask_b32_e64 v14, v15, v14, s[0:1]
	ds_write_b8 v6, v14
	v_add_u16_e32 v14, v14, v16
	ds_write_b8 v6, v14 offset:1
	v_add_u16_e32 v14, v14, v17
	ds_write_b8 v6, v14 offset:2
	;; [unrolled: 2-line block ×3, first 2 shown]
.LBB153_4:                              ;   in Loop: Header=BB153_2 Depth=1
	s_or_b64 exec, exec, s[8:9]
	v_mov_b32_e32 v14, s10
	s_waitcnt lgkmcnt(0)
	s_barrier
	s_and_saveexec_b64 s[4:5], s[2:3]
	s_cbranch_execz .LBB153_1
; %bb.5:                                ;   in Loop: Header=BB153_2 Depth=1
	ds_read_u8 v14, v0
	s_waitcnt lgkmcnt(0)
	v_add_u16_e32 v14, s10, v14
	s_branch .LBB153_1
.LBB153_6:
	v_lshl_add_u64 v[0:1], s[6:7], 0, v[2:3]
	v_or_b32_sdwa v2, v14, v12 dst_sel:DWORD dst_unused:UNUSED_PAD src0_sel:BYTE_0 src1_sel:DWORD
	v_or_b32_sdwa v3, v15, v16 dst_sel:DWORD dst_unused:UNUSED_PAD src0_sel:WORD_0 src1_sel:DWORD
	v_or_b32_sdwa v2, v2, v13 dst_sel:DWORD dst_unused:UNUSED_PAD src0_sel:WORD_0 src1_sel:DWORD
	global_store_dwordx2 v[0:1], v[2:3], off
	s_endpgm
	.section	.rodata,"a",@progbits
	.p2align	6, 0x0
	.amdhsa_kernel _Z6kernelI14exclusive_scanILN6hipcub18BlockScanAlgorithmE1EEhLj256ELj8ELj100EEvPKT0_PS4_S4_
		.amdhsa_group_segment_fixed_size 264
		.amdhsa_private_segment_fixed_size 0
		.amdhsa_kernarg_size 280
		.amdhsa_user_sgpr_count 2
		.amdhsa_user_sgpr_dispatch_ptr 0
		.amdhsa_user_sgpr_queue_ptr 0
		.amdhsa_user_sgpr_kernarg_segment_ptr 1
		.amdhsa_user_sgpr_dispatch_id 0
		.amdhsa_user_sgpr_kernarg_preload_length 0
		.amdhsa_user_sgpr_kernarg_preload_offset 0
		.amdhsa_user_sgpr_private_segment_size 0
		.amdhsa_uses_dynamic_stack 0
		.amdhsa_enable_private_segment 0
		.amdhsa_system_sgpr_workgroup_id_x 1
		.amdhsa_system_sgpr_workgroup_id_y 0
		.amdhsa_system_sgpr_workgroup_id_z 0
		.amdhsa_system_sgpr_workgroup_info 0
		.amdhsa_system_vgpr_workitem_id 0
		.amdhsa_next_free_vgpr 21
		.amdhsa_next_free_sgpr 12
		.amdhsa_accum_offset 24
		.amdhsa_reserve_vcc 1
		.amdhsa_float_round_mode_32 0
		.amdhsa_float_round_mode_16_64 0
		.amdhsa_float_denorm_mode_32 3
		.amdhsa_float_denorm_mode_16_64 3
		.amdhsa_dx10_clamp 1
		.amdhsa_ieee_mode 1
		.amdhsa_fp16_overflow 0
		.amdhsa_tg_split 0
		.amdhsa_exception_fp_ieee_invalid_op 0
		.amdhsa_exception_fp_denorm_src 0
		.amdhsa_exception_fp_ieee_div_zero 0
		.amdhsa_exception_fp_ieee_overflow 0
		.amdhsa_exception_fp_ieee_underflow 0
		.amdhsa_exception_fp_ieee_inexact 0
		.amdhsa_exception_int_div_zero 0
	.end_amdhsa_kernel
	.section	.text._Z6kernelI14exclusive_scanILN6hipcub18BlockScanAlgorithmE1EEhLj256ELj8ELj100EEvPKT0_PS4_S4_,"axG",@progbits,_Z6kernelI14exclusive_scanILN6hipcub18BlockScanAlgorithmE1EEhLj256ELj8ELj100EEvPKT0_PS4_S4_,comdat
.Lfunc_end153:
	.size	_Z6kernelI14exclusive_scanILN6hipcub18BlockScanAlgorithmE1EEhLj256ELj8ELj100EEvPKT0_PS4_S4_, .Lfunc_end153-_Z6kernelI14exclusive_scanILN6hipcub18BlockScanAlgorithmE1EEhLj256ELj8ELj100EEvPKT0_PS4_S4_
                                        ; -- End function
	.section	.AMDGPU.csdata,"",@progbits
; Kernel info:
; codeLenInByte = 832
; NumSgprs: 18
; NumVgprs: 21
; NumAgprs: 0
; TotalNumVgprs: 21
; ScratchSize: 0
; MemoryBound: 0
; FloatMode: 240
; IeeeMode: 1
; LDSByteSize: 264 bytes/workgroup (compile time only)
; SGPRBlocks: 2
; VGPRBlocks: 2
; NumSGPRsForWavesPerEU: 18
; NumVGPRsForWavesPerEU: 21
; AccumOffset: 24
; Occupancy: 8
; WaveLimiterHint : 0
; COMPUTE_PGM_RSRC2:SCRATCH_EN: 0
; COMPUTE_PGM_RSRC2:USER_SGPR: 2
; COMPUTE_PGM_RSRC2:TRAP_HANDLER: 0
; COMPUTE_PGM_RSRC2:TGID_X_EN: 1
; COMPUTE_PGM_RSRC2:TGID_Y_EN: 0
; COMPUTE_PGM_RSRC2:TGID_Z_EN: 0
; COMPUTE_PGM_RSRC2:TIDIG_COMP_CNT: 0
; COMPUTE_PGM_RSRC3_GFX90A:ACCUM_OFFSET: 5
; COMPUTE_PGM_RSRC3_GFX90A:TG_SPLIT: 0
	.section	.text._Z6kernelI14exclusive_scanILN6hipcub18BlockScanAlgorithmE1EEhLj256ELj11ELj100EEvPKT0_PS4_S4_,"axG",@progbits,_Z6kernelI14exclusive_scanILN6hipcub18BlockScanAlgorithmE1EEhLj256ELj11ELj100EEvPKT0_PS4_S4_,comdat
	.protected	_Z6kernelI14exclusive_scanILN6hipcub18BlockScanAlgorithmE1EEhLj256ELj11ELj100EEvPKT0_PS4_S4_ ; -- Begin function _Z6kernelI14exclusive_scanILN6hipcub18BlockScanAlgorithmE1EEhLj256ELj11ELj100EEvPKT0_PS4_S4_
	.globl	_Z6kernelI14exclusive_scanILN6hipcub18BlockScanAlgorithmE1EEhLj256ELj11ELj100EEvPKT0_PS4_S4_
	.p2align	8
	.type	_Z6kernelI14exclusive_scanILN6hipcub18BlockScanAlgorithmE1EEhLj256ELj11ELj100EEvPKT0_PS4_S4_,@function
_Z6kernelI14exclusive_scanILN6hipcub18BlockScanAlgorithmE1EEhLj256ELj11ELj100EEvPKT0_PS4_S4_: ; @_Z6kernelI14exclusive_scanILN6hipcub18BlockScanAlgorithmE1EEhLj256ELj11ELj100EEvPKT0_PS4_S4_
; %bb.0:
	s_load_dword s3, s[0:1], 0x24
	s_load_dwordx4 s[4:7], s[0:1], 0x0
	s_load_dword s10, s[0:1], 0x10
	v_mbcnt_lo_u32_b32 v25, -1, 0
	v_add_u32_e32 v30, -1, v0
	s_waitcnt lgkmcnt(0)
	s_and_b32 s0, s3, 0xffff
	s_mul_i32 s2, s2, s0
	v_add_u32_e32 v1, s2, v0
	v_mul_lo_u32 v2, v1, 11
	v_add_u32_e32 v6, 3, v2
	v_add_u32_e32 v4, 1, v2
	global_load_ubyte v31, v2, s[4:5]
	global_load_ubyte v33, v4, s[4:5]
	v_add_u32_e32 v8, 4, v2
	v_add_u32_e32 v10, 5, v2
	v_add_u32_e32 v12, 6, v2
	v_add_u32_e32 v14, 7, v2
	global_load_ubyte v34, v6, s[4:5]
	global_load_ubyte v35, v8, s[4:5]
	;; [unrolled: 1-line block ×5, first 2 shown]
	v_add_u32_e32 v22, 2, v2
	global_load_ubyte v39, v22, s[4:5]
	v_add_u32_e32 v16, 8, v2
	v_add_u32_e32 v18, 9, v2
	;; [unrolled: 1-line block ×3, first 2 shown]
	global_load_ubyte v1, v16, s[4:5]
	global_load_ubyte v24, v18, s[4:5]
	;; [unrolled: 1-line block ×3, first 2 shown]
	v_mov_b32_e32 v3, 0
	v_lshrrev_b32_e32 v26, 5, v0
	v_lshrrev_b32_e32 v27, 3, v0
	v_mbcnt_hi_u32_b32 v25, -1, v25
	v_lshrrev_b32_e32 v40, 5, v30
	s_movk_i32 s11, 0x64
	v_mov_b32_e32 v5, v3
	v_mov_b32_e32 v23, v3
	;; [unrolled: 1-line block ×10, first 2 shown]
	v_cmp_gt_u32_e32 vcc, 64, v0
	v_cmp_eq_u32_e64 s[0:1], 0, v0
	v_cmp_ne_u32_e64 s[2:3], 0, v0
	v_add_u32_e32 v26, v26, v0
	v_lshl_add_u32 v0, v0, 2, v27
	v_and_b32_e32 v27, 15, v25
	v_and_b32_e32 v28, 16, v25
	v_add_u32_e32 v29, -1, v25
	v_add_u32_e32 v30, v40, v30
	s_waitcnt vmcnt(9)
	v_lshlrev_b16_e32 v33, 8, v33
	s_waitcnt vmcnt(8)
	v_lshlrev_b16_e32 v34, 8, v34
	v_or_b32_e32 v31, v31, v33
	s_waitcnt vmcnt(6)
	v_lshlrev_b16_e32 v36, 8, v36
	s_waitcnt vmcnt(4)
	v_lshlrev_b16_e32 v38, 8, v38
	s_waitcnt vmcnt(3)
	v_or_b32_sdwa v33, v39, v34 dst_sel:WORD_1 dst_unused:UNUSED_PAD src0_sel:DWORD src1_sel:DWORD
	v_or_b32_e32 v34, v35, v36
	v_or_b32_sdwa v35, v37, v38 dst_sel:WORD_1 dst_unused:UNUSED_PAD src0_sel:DWORD src1_sel:DWORD
	v_or_b32_sdwa v33, v31, v33 dst_sel:DWORD dst_unused:UNUSED_PAD src0_sel:WORD_0 src1_sel:DWORD
	v_or_b32_sdwa v34, v34, v35 dst_sel:DWORD dst_unused:UNUSED_PAD src0_sel:WORD_0 src1_sel:DWORD
	v_and_b32_e32 v31, 64, v25
.LBB154_1:                              ; =>This Inner Loop Header: Depth=1
	v_lshrrev_b32_e32 v36, 8, v33
	v_add_u16_e32 v37, v36, v33
	v_add_u16_sdwa v37, v37, v33 dst_sel:DWORD dst_unused:UNUSED_PAD src0_sel:DWORD src1_sel:WORD_1
	v_add_u16_sdwa v37, v37, v33 dst_sel:DWORD dst_unused:UNUSED_PAD src0_sel:DWORD src1_sel:BYTE_3
	v_lshrrev_b32_e32 v35, 8, v34
	v_add_u16_e32 v37, v37, v34
	v_add_u16_e32 v37, v37, v35
	v_add_u16_sdwa v37, v37, v34 dst_sel:DWORD dst_unused:UNUSED_PAD src0_sel:DWORD src1_sel:WORD_1
	v_add_u16_sdwa v37, v37, v34 dst_sel:DWORD dst_unused:UNUSED_PAD src0_sel:DWORD src1_sel:BYTE_3
	s_waitcnt vmcnt(2)
	v_add_u16_e32 v37, v37, v1
	s_waitcnt vmcnt(1)
	v_add_u16_e32 v37, v37, v24
	;; [unrolled: 2-line block ×3, first 2 shown]
	ds_write_b8 v26, v32
	s_waitcnt lgkmcnt(0)
	s_barrier
	s_and_saveexec_b64 s[8:9], vcc
	s_cbranch_execz .LBB154_3
; %bb.2:                                ;   in Loop: Header=BB154_1 Depth=1
	ds_read_u8 v37, v0
	ds_read_u8 v38, v0 offset:1
	ds_read_u8 v39, v0 offset:2
	;; [unrolled: 1-line block ×3, first 2 shown]
	v_cmp_ne_u32_e64 s[4:5], 0, v27
	s_waitcnt lgkmcnt(2)
	v_add_u16_e32 v41, v38, v37
	s_waitcnt lgkmcnt(1)
	v_add_u16_e32 v41, v41, v39
	;; [unrolled: 2-line block ×3, first 2 shown]
	v_and_b32_e32 v42, 0xff, v41
	s_nop 1
	v_mov_b32_dpp v42, v42 row_shr:1 row_mask:0xf bank_mask:0xf
	v_cndmask_b32_e64 v42, 0, v42, s[4:5]
	v_add_u16_e32 v41, v42, v41
	v_and_b32_e32 v42, 0xff, v41
	v_cmp_lt_u32_e64 s[4:5], 1, v27
	s_nop 0
	v_mov_b32_dpp v42, v42 row_shr:2 row_mask:0xf bank_mask:0xf
	v_cndmask_b32_e64 v42, 0, v42, s[4:5]
	v_add_u16_e32 v41, v41, v42
	v_and_b32_e32 v42, 0xff, v41
	v_cmp_lt_u32_e64 s[4:5], 3, v27
	;; [unrolled: 6-line block ×3, first 2 shown]
	s_nop 0
	v_mov_b32_dpp v42, v42 row_shr:8 row_mask:0xf bank_mask:0xf
	v_cndmask_b32_e64 v42, 0, v42, s[4:5]
	v_add_u16_e32 v41, v41, v42
	v_and_b32_e32 v42, 0xff, v41
	v_cmp_ne_u32_e64 s[4:5], 0, v28
	s_nop 0
	v_mov_b32_dpp v42, v42 row_bcast:15 row_mask:0xf bank_mask:0xf
	v_cndmask_b32_e64 v42, 0, v42, s[4:5]
	v_add_u16_e32 v41, v41, v42
	v_and_b32_e32 v42, 0xff, v41
	v_cmp_lt_u32_e64 s[4:5], 31, v25
	s_nop 0
	v_mov_b32_dpp v42, v42 row_bcast:31 row_mask:0xf bank_mask:0xf
	v_cndmask_b32_e64 v42, 0, v42, s[4:5]
	v_cmp_lt_i32_e64 s[4:5], v29, v31
	v_add_u16_e32 v41, v41, v42
	v_and_b32_e32 v41, 0xff, v41
	v_cndmask_b32_e64 v42, v29, v25, s[4:5]
	v_lshlrev_b32_e32 v42, 2, v42
	ds_bpermute_b32 v41, v42, v41
	s_waitcnt lgkmcnt(0)
	v_add_u16_e32 v37, v37, v41
	v_cndmask_b32_e64 v32, v37, v32, s[0:1]
	ds_write_b8 v0, v32
	v_add_u16_e32 v32, v32, v38
	ds_write_b8 v0, v32 offset:1
	v_add_u16_e32 v32, v32, v39
	ds_write_b8 v0, v32 offset:2
	;; [unrolled: 2-line block ×3, first 2 shown]
.LBB154_3:                              ;   in Loop: Header=BB154_1 Depth=1
	s_or_b64 exec, exec, s[8:9]
	v_mov_b32_e32 v37, s10
	s_waitcnt lgkmcnt(0)
	s_barrier
	s_and_saveexec_b64 s[4:5], s[2:3]
	s_cbranch_execz .LBB154_5
; %bb.4:                                ;   in Loop: Header=BB154_1 Depth=1
	ds_read_u8 v32, v30
	s_waitcnt lgkmcnt(0)
	v_add_u16_e32 v37, s10, v32
.LBB154_5:                              ;   in Loop: Header=BB154_1 Depth=1
	s_or_b64 exec, exec, s[4:5]
	v_add_u16_e32 v44, v37, v33
	v_add_u16_e32 v43, v44, v36
	v_add_u16_sdwa v42, v43, v33 dst_sel:DWORD dst_unused:UNUSED_PAD src0_sel:DWORD src1_sel:WORD_1
	v_add_u16_sdwa v41, v42, v33 dst_sel:DWORD dst_unused:UNUSED_PAD src0_sel:DWORD src1_sel:BYTE_3
	v_add_u16_e32 v40, v41, v34
	v_add_u16_e32 v39, v40, v35
	v_add_u16_sdwa v38, v39, v34 dst_sel:DWORD dst_unused:UNUSED_PAD src0_sel:DWORD src1_sel:WORD_1
	v_add_u16_sdwa v36, v38, v34 dst_sel:DWORD dst_unused:UNUSED_PAD src0_sel:DWORD src1_sel:BYTE_3
	v_add_u16_e32 v35, v36, v1
	v_add_u16_e32 v32, v35, v24
	v_lshlrev_b16_e32 v1, 8, v44
	v_lshlrev_b16_e32 v24, 8, v42
	v_or_b32_sdwa v1, v37, v1 dst_sel:DWORD dst_unused:UNUSED_PAD src0_sel:BYTE_0 src1_sel:DWORD
	v_or_b32_sdwa v24, v43, v24 dst_sel:WORD_1 dst_unused:UNUSED_PAD src0_sel:BYTE_0 src1_sel:DWORD
	s_add_i32 s11, s11, -1
	v_or_b32_sdwa v33, v1, v24 dst_sel:DWORD dst_unused:UNUSED_PAD src0_sel:WORD_0 src1_sel:DWORD
	v_lshlrev_b16_e32 v1, 8, v40
	v_lshlrev_b16_e32 v24, 8, v38
	v_or_b32_sdwa v1, v41, v1 dst_sel:DWORD dst_unused:UNUSED_PAD src0_sel:BYTE_0 src1_sel:DWORD
	v_or_b32_sdwa v24, v39, v24 dst_sel:WORD_1 dst_unused:UNUSED_PAD src0_sel:BYTE_0 src1_sel:DWORD
	s_cmp_lg_u32 s11, 0
	v_or_b32_sdwa v34, v1, v24 dst_sel:DWORD dst_unused:UNUSED_PAD src0_sel:WORD_0 src1_sel:DWORD
	s_cbranch_scc0 .LBB154_7
; %bb.6:                                ;   in Loop: Header=BB154_1 Depth=1
	v_mov_b32_e32 v1, v36
	v_mov_b32_e32 v24, v35
	s_branch .LBB154_1
.LBB154_7:
	v_lshl_add_u64 v[0:1], s[6:7], 0, v[2:3]
	global_store_byte v[0:1], v37, off
	v_lshl_add_u64 v[0:1], s[6:7], 0, v[4:5]
	global_store_byte v[0:1], v44, off
	;; [unrolled: 2-line block ×11, first 2 shown]
	s_endpgm
	.section	.rodata,"a",@progbits
	.p2align	6, 0x0
	.amdhsa_kernel _Z6kernelI14exclusive_scanILN6hipcub18BlockScanAlgorithmE1EEhLj256ELj11ELj100EEvPKT0_PS4_S4_
		.amdhsa_group_segment_fixed_size 264
		.amdhsa_private_segment_fixed_size 0
		.amdhsa_kernarg_size 280
		.amdhsa_user_sgpr_count 2
		.amdhsa_user_sgpr_dispatch_ptr 0
		.amdhsa_user_sgpr_queue_ptr 0
		.amdhsa_user_sgpr_kernarg_segment_ptr 1
		.amdhsa_user_sgpr_dispatch_id 0
		.amdhsa_user_sgpr_kernarg_preload_length 0
		.amdhsa_user_sgpr_kernarg_preload_offset 0
		.amdhsa_user_sgpr_private_segment_size 0
		.amdhsa_uses_dynamic_stack 0
		.amdhsa_enable_private_segment 0
		.amdhsa_system_sgpr_workgroup_id_x 1
		.amdhsa_system_sgpr_workgroup_id_y 0
		.amdhsa_system_sgpr_workgroup_id_z 0
		.amdhsa_system_sgpr_workgroup_info 0
		.amdhsa_system_vgpr_workitem_id 0
		.amdhsa_next_free_vgpr 45
		.amdhsa_next_free_sgpr 12
		.amdhsa_accum_offset 48
		.amdhsa_reserve_vcc 1
		.amdhsa_float_round_mode_32 0
		.amdhsa_float_round_mode_16_64 0
		.amdhsa_float_denorm_mode_32 3
		.amdhsa_float_denorm_mode_16_64 3
		.amdhsa_dx10_clamp 1
		.amdhsa_ieee_mode 1
		.amdhsa_fp16_overflow 0
		.amdhsa_tg_split 0
		.amdhsa_exception_fp_ieee_invalid_op 0
		.amdhsa_exception_fp_denorm_src 0
		.amdhsa_exception_fp_ieee_div_zero 0
		.amdhsa_exception_fp_ieee_overflow 0
		.amdhsa_exception_fp_ieee_underflow 0
		.amdhsa_exception_fp_ieee_inexact 0
		.amdhsa_exception_int_div_zero 0
	.end_amdhsa_kernel
	.section	.text._Z6kernelI14exclusive_scanILN6hipcub18BlockScanAlgorithmE1EEhLj256ELj11ELj100EEvPKT0_PS4_S4_,"axG",@progbits,_Z6kernelI14exclusive_scanILN6hipcub18BlockScanAlgorithmE1EEhLj256ELj11ELj100EEvPKT0_PS4_S4_,comdat
.Lfunc_end154:
	.size	_Z6kernelI14exclusive_scanILN6hipcub18BlockScanAlgorithmE1EEhLj256ELj11ELj100EEvPKT0_PS4_S4_, .Lfunc_end154-_Z6kernelI14exclusive_scanILN6hipcub18BlockScanAlgorithmE1EEhLj256ELj11ELj100EEvPKT0_PS4_S4_
                                        ; -- End function
	.section	.AMDGPU.csdata,"",@progbits
; Kernel info:
; codeLenInByte = 1248
; NumSgprs: 18
; NumVgprs: 45
; NumAgprs: 0
; TotalNumVgprs: 45
; ScratchSize: 0
; MemoryBound: 0
; FloatMode: 240
; IeeeMode: 1
; LDSByteSize: 264 bytes/workgroup (compile time only)
; SGPRBlocks: 2
; VGPRBlocks: 5
; NumSGPRsForWavesPerEU: 18
; NumVGPRsForWavesPerEU: 45
; AccumOffset: 48
; Occupancy: 8
; WaveLimiterHint : 0
; COMPUTE_PGM_RSRC2:SCRATCH_EN: 0
; COMPUTE_PGM_RSRC2:USER_SGPR: 2
; COMPUTE_PGM_RSRC2:TRAP_HANDLER: 0
; COMPUTE_PGM_RSRC2:TGID_X_EN: 1
; COMPUTE_PGM_RSRC2:TGID_Y_EN: 0
; COMPUTE_PGM_RSRC2:TGID_Z_EN: 0
; COMPUTE_PGM_RSRC2:TIDIG_COMP_CNT: 0
; COMPUTE_PGM_RSRC3_GFX90A:ACCUM_OFFSET: 11
; COMPUTE_PGM_RSRC3_GFX90A:TG_SPLIT: 0
	.section	.text._Z6kernelI14exclusive_scanILN6hipcub18BlockScanAlgorithmE1EEhLj256ELj16ELj100EEvPKT0_PS4_S4_,"axG",@progbits,_Z6kernelI14exclusive_scanILN6hipcub18BlockScanAlgorithmE1EEhLj256ELj16ELj100EEvPKT0_PS4_S4_,comdat
	.protected	_Z6kernelI14exclusive_scanILN6hipcub18BlockScanAlgorithmE1EEhLj256ELj16ELj100EEvPKT0_PS4_S4_ ; -- Begin function _Z6kernelI14exclusive_scanILN6hipcub18BlockScanAlgorithmE1EEhLj256ELj16ELj100EEvPKT0_PS4_S4_
	.globl	_Z6kernelI14exclusive_scanILN6hipcub18BlockScanAlgorithmE1EEhLj256ELj16ELj100EEvPKT0_PS4_S4_
	.p2align	8
	.type	_Z6kernelI14exclusive_scanILN6hipcub18BlockScanAlgorithmE1EEhLj256ELj16ELj100EEvPKT0_PS4_S4_,@function
_Z6kernelI14exclusive_scanILN6hipcub18BlockScanAlgorithmE1EEhLj256ELj16ELj100EEvPKT0_PS4_S4_: ; @_Z6kernelI14exclusive_scanILN6hipcub18BlockScanAlgorithmE1EEhLj256ELj16ELj100EEvPKT0_PS4_S4_
; %bb.0:
	s_load_dword s3, s[0:1], 0x24
	s_load_dwordx4 s[4:7], s[0:1], 0x0
	s_load_dword s10, s[0:1], 0x10
	v_lshrrev_b32_e32 v1, 5, v0
	v_lshrrev_b32_e32 v8, 3, v0
	s_waitcnt lgkmcnt(0)
	s_and_b32 s0, s3, 0xffff
	s_mul_i32 s2, s2, s0
	v_add_lshl_u32 v6, s2, v0, 4
	global_load_dwordx4 v[2:5], v6, s[4:5]
	v_add_u32_e32 v1, v1, v0
	v_cmp_gt_u32_e32 vcc, 64, v0
	v_cmp_eq_u32_e64 s[0:1], 0, v0
	v_cmp_ne_u32_e64 s[2:3], 0, v0
	v_lshl_add_u32 v8, v0, 2, v8
	v_add_u32_e32 v0, -1, v0
	v_lshrrev_b32_e32 v9, 5, v0
	v_add_u32_e32 v0, v9, v0
	v_mbcnt_lo_u32_b32 v9, -1, 0
	v_mbcnt_hi_u32_b32 v9, -1, v9
	v_mov_b32_e32 v7, 0
	s_movk_i32 s11, 0x64
	v_and_b32_e32 v10, 15, v9
	v_and_b32_e32 v11, 16, v9
	v_add_u32_e32 v12, -1, v9
	v_and_b32_e32 v13, 64, v9
	s_branch .LBB155_2
.LBB155_1:                              ;   in Loop: Header=BB155_2 Depth=1
	s_or_b64 exec, exec, s[4:5]
	v_add_u16_e32 v19, v18, v2
	v_add_u16_e32 v16, v19, v16
	v_add_u16_sdwa v20, v16, v2 dst_sel:DWORD dst_unused:UNUSED_PAD src0_sel:DWORD src1_sel:WORD_1
	v_add_u16_sdwa v21, v20, v2 dst_sel:DWORD dst_unused:UNUSED_PAD src0_sel:DWORD src1_sel:BYTE_3
	v_add_u16_e32 v22, v21, v3
	v_add_u16_e32 v23, v22, v15
	v_add_u16_sdwa v24, v23, v3 dst_sel:DWORD dst_unused:UNUSED_PAD src0_sel:DWORD src1_sel:WORD_1
	v_add_u16_sdwa v25, v24, v3 dst_sel:DWORD dst_unused:UNUSED_PAD src0_sel:DWORD src1_sel:BYTE_3
	;; [unrolled: 4-line block ×3, first 2 shown]
	v_add_u16_e32 v30, v29, v5
	v_add_u16_e32 v31, v30, v14
	v_lshlrev_b16_e32 v3, 8, v20
	v_add_u16_sdwa v5, v31, v5 dst_sel:DWORD dst_unused:UNUSED_PAD src0_sel:DWORD src1_sel:WORD_1
	v_or_b32_sdwa v15, v16, v3 dst_sel:WORD_1 dst_unused:UNUSED_PAD src0_sel:BYTE_0 src1_sel:DWORD
	v_lshlrev_b16_e32 v3, 8, v22
	v_lshlrev_b16_e32 v4, 8, v26
	;; [unrolled: 1-line block ×3, first 2 shown]
	v_or_b32_sdwa v16, v21, v3 dst_sel:DWORD dst_unused:UNUSED_PAD src0_sel:BYTE_0 src1_sel:DWORD
	v_lshlrev_b16_e32 v3, 8, v24
	v_or_b32_sdwa v19, v25, v4 dst_sel:DWORD dst_unused:UNUSED_PAD src0_sel:BYTE_0 src1_sel:DWORD
	v_lshlrev_b16_e32 v4, 8, v28
	v_lshlrev_b16_e32 v21, 8, v30
	;; [unrolled: 1-line block ×3, first 2 shown]
	v_or_b32_sdwa v2, v18, v14 dst_sel:DWORD dst_unused:UNUSED_PAD src0_sel:BYTE_0 src1_sel:DWORD
	v_or_b32_sdwa v17, v23, v3 dst_sel:WORD_1 dst_unused:UNUSED_PAD src0_sel:BYTE_0 src1_sel:DWORD
	v_or_b32_sdwa v20, v27, v4 dst_sel:WORD_1 dst_unused:UNUSED_PAD src0_sel:BYTE_0 src1_sel:DWORD
	v_or_b32_sdwa v21, v29, v21 dst_sel:DWORD dst_unused:UNUSED_PAD src0_sel:BYTE_0 src1_sel:DWORD
	v_or_b32_sdwa v22, v31, v5 dst_sel:WORD_1 dst_unused:UNUSED_PAD src0_sel:BYTE_0 src1_sel:DWORD
	s_add_i32 s11, s11, -1
	v_or_b32_sdwa v2, v2, v15 dst_sel:DWORD dst_unused:UNUSED_PAD src0_sel:WORD_0 src1_sel:DWORD
	v_or_b32_sdwa v3, v16, v17 dst_sel:DWORD dst_unused:UNUSED_PAD src0_sel:WORD_0 src1_sel:DWORD
	;; [unrolled: 1-line block ×3, first 2 shown]
	s_cmp_lg_u32 s11, 0
	v_or_b32_sdwa v5, v21, v22 dst_sel:DWORD dst_unused:UNUSED_PAD src0_sel:WORD_0 src1_sel:DWORD
	s_cbranch_scc0 .LBB155_6
.LBB155_2:                              ; =>This Inner Loop Header: Depth=1
	s_waitcnt vmcnt(0)
	v_lshrrev_b32_e32 v16, 8, v2
	v_add_u16_e32 v17, v16, v2
	v_add_u16_sdwa v17, v17, v2 dst_sel:DWORD dst_unused:UNUSED_PAD src0_sel:DWORD src1_sel:WORD_1
	v_add_u16_sdwa v17, v17, v2 dst_sel:DWORD dst_unused:UNUSED_PAD src0_sel:DWORD src1_sel:BYTE_3
	v_lshrrev_b32_e32 v15, 8, v3
	v_add_u16_e32 v17, v17, v3
	v_add_u16_e32 v17, v17, v15
	v_add_u16_sdwa v17, v17, v3 dst_sel:DWORD dst_unused:UNUSED_PAD src0_sel:DWORD src1_sel:WORD_1
	v_add_u16_sdwa v17, v17, v3 dst_sel:DWORD dst_unused:UNUSED_PAD src0_sel:DWORD src1_sel:BYTE_3
	v_add_u16_e32 v18, v17, v4
	v_lshrrev_b32_e32 v17, 8, v4
	v_add_u16_e32 v18, v18, v17
	v_add_u16_sdwa v18, v18, v4 dst_sel:DWORD dst_unused:UNUSED_PAD src0_sel:DWORD src1_sel:WORD_1
	v_add_u16_sdwa v18, v18, v4 dst_sel:DWORD dst_unused:UNUSED_PAD src0_sel:DWORD src1_sel:BYTE_3
	v_lshrrev_b32_e32 v14, 8, v5
	v_add_u16_e32 v18, v18, v5
	v_add_u16_e32 v18, v18, v14
	v_add_u16_sdwa v18, v18, v5 dst_sel:DWORD dst_unused:UNUSED_PAD src0_sel:DWORD src1_sel:WORD_1
	v_add_u16_sdwa v18, v18, v5 dst_sel:DWORD dst_unused:UNUSED_PAD src0_sel:DWORD src1_sel:BYTE_3
	ds_write_b8 v1, v18
	s_waitcnt lgkmcnt(0)
	s_barrier
	s_and_saveexec_b64 s[8:9], vcc
	s_cbranch_execz .LBB155_4
; %bb.3:                                ;   in Loop: Header=BB155_2 Depth=1
	ds_read_u8 v19, v8
	ds_read_u8 v20, v8 offset:1
	ds_read_u8 v21, v8 offset:2
	;; [unrolled: 1-line block ×3, first 2 shown]
	v_cmp_ne_u32_e64 s[4:5], 0, v10
	s_waitcnt lgkmcnt(2)
	v_add_u16_e32 v23, v20, v19
	s_waitcnt lgkmcnt(1)
	v_add_u16_e32 v23, v23, v21
	;; [unrolled: 2-line block ×3, first 2 shown]
	v_and_b32_e32 v24, 0xff, v23
	s_nop 1
	v_mov_b32_dpp v24, v24 row_shr:1 row_mask:0xf bank_mask:0xf
	v_cndmask_b32_e64 v24, 0, v24, s[4:5]
	v_add_u16_e32 v23, v24, v23
	v_and_b32_e32 v24, 0xff, v23
	v_cmp_lt_u32_e64 s[4:5], 1, v10
	s_nop 0
	v_mov_b32_dpp v24, v24 row_shr:2 row_mask:0xf bank_mask:0xf
	v_cndmask_b32_e64 v24, 0, v24, s[4:5]
	v_add_u16_e32 v23, v23, v24
	v_and_b32_e32 v24, 0xff, v23
	v_cmp_lt_u32_e64 s[4:5], 3, v10
	;; [unrolled: 6-line block ×3, first 2 shown]
	s_nop 0
	v_mov_b32_dpp v24, v24 row_shr:8 row_mask:0xf bank_mask:0xf
	v_cndmask_b32_e64 v24, 0, v24, s[4:5]
	v_add_u16_e32 v23, v23, v24
	v_and_b32_e32 v24, 0xff, v23
	v_cmp_ne_u32_e64 s[4:5], 0, v11
	s_nop 0
	v_mov_b32_dpp v24, v24 row_bcast:15 row_mask:0xf bank_mask:0xf
	v_cndmask_b32_e64 v24, 0, v24, s[4:5]
	v_add_u16_e32 v23, v23, v24
	v_and_b32_e32 v24, 0xff, v23
	v_cmp_lt_u32_e64 s[4:5], 31, v9
	s_nop 0
	v_mov_b32_dpp v24, v24 row_bcast:31 row_mask:0xf bank_mask:0xf
	v_cndmask_b32_e64 v24, 0, v24, s[4:5]
	v_cmp_lt_i32_e64 s[4:5], v12, v13
	v_add_u16_e32 v23, v23, v24
	v_and_b32_e32 v23, 0xff, v23
	v_cndmask_b32_e64 v24, v12, v9, s[4:5]
	v_lshlrev_b32_e32 v24, 2, v24
	ds_bpermute_b32 v23, v24, v23
	s_waitcnt lgkmcnt(0)
	v_add_u16_e32 v19, v19, v23
	v_cndmask_b32_e64 v18, v19, v18, s[0:1]
	ds_write_b8 v8, v18
	v_add_u16_e32 v18, v18, v20
	ds_write_b8 v8, v18 offset:1
	v_add_u16_e32 v18, v18, v21
	ds_write_b8 v8, v18 offset:2
	;; [unrolled: 2-line block ×3, first 2 shown]
.LBB155_4:                              ;   in Loop: Header=BB155_2 Depth=1
	s_or_b64 exec, exec, s[8:9]
	v_mov_b32_e32 v18, s10
	s_waitcnt lgkmcnt(0)
	s_barrier
	s_and_saveexec_b64 s[4:5], s[2:3]
	s_cbranch_execz .LBB155_1
; %bb.5:                                ;   in Loop: Header=BB155_2 Depth=1
	ds_read_u8 v18, v0
	s_waitcnt lgkmcnt(0)
	v_add_u16_e32 v18, s10, v18
	s_branch .LBB155_1
.LBB155_6:
	v_or_b32_sdwa v0, v18, v14 dst_sel:DWORD dst_unused:UNUSED_PAD src0_sel:BYTE_0 src1_sel:DWORD
	v_lshl_add_u64 v[4:5], s[6:7], 0, v[6:7]
	v_or_b32_sdwa v3, v21, v22 dst_sel:DWORD dst_unused:UNUSED_PAD src0_sel:WORD_0 src1_sel:DWORD
	v_or_b32_sdwa v2, v19, v20 dst_sel:DWORD dst_unused:UNUSED_PAD src0_sel:WORD_0 src1_sel:DWORD
	;; [unrolled: 1-line block ×4, first 2 shown]
	global_store_dwordx4 v[4:5], v[0:3], off
	s_endpgm
	.section	.rodata,"a",@progbits
	.p2align	6, 0x0
	.amdhsa_kernel _Z6kernelI14exclusive_scanILN6hipcub18BlockScanAlgorithmE1EEhLj256ELj16ELj100EEvPKT0_PS4_S4_
		.amdhsa_group_segment_fixed_size 264
		.amdhsa_private_segment_fixed_size 0
		.amdhsa_kernarg_size 280
		.amdhsa_user_sgpr_count 2
		.amdhsa_user_sgpr_dispatch_ptr 0
		.amdhsa_user_sgpr_queue_ptr 0
		.amdhsa_user_sgpr_kernarg_segment_ptr 1
		.amdhsa_user_sgpr_dispatch_id 0
		.amdhsa_user_sgpr_kernarg_preload_length 0
		.amdhsa_user_sgpr_kernarg_preload_offset 0
		.amdhsa_user_sgpr_private_segment_size 0
		.amdhsa_uses_dynamic_stack 0
		.amdhsa_enable_private_segment 0
		.amdhsa_system_sgpr_workgroup_id_x 1
		.amdhsa_system_sgpr_workgroup_id_y 0
		.amdhsa_system_sgpr_workgroup_id_z 0
		.amdhsa_system_sgpr_workgroup_info 0
		.amdhsa_system_vgpr_workitem_id 0
		.amdhsa_next_free_vgpr 32
		.amdhsa_next_free_sgpr 12
		.amdhsa_accum_offset 32
		.amdhsa_reserve_vcc 1
		.amdhsa_float_round_mode_32 0
		.amdhsa_float_round_mode_16_64 0
		.amdhsa_float_denorm_mode_32 3
		.amdhsa_float_denorm_mode_16_64 3
		.amdhsa_dx10_clamp 1
		.amdhsa_ieee_mode 1
		.amdhsa_fp16_overflow 0
		.amdhsa_tg_split 0
		.amdhsa_exception_fp_ieee_invalid_op 0
		.amdhsa_exception_fp_denorm_src 0
		.amdhsa_exception_fp_ieee_div_zero 0
		.amdhsa_exception_fp_ieee_overflow 0
		.amdhsa_exception_fp_ieee_underflow 0
		.amdhsa_exception_fp_ieee_inexact 0
		.amdhsa_exception_int_div_zero 0
	.end_amdhsa_kernel
	.section	.text._Z6kernelI14exclusive_scanILN6hipcub18BlockScanAlgorithmE1EEhLj256ELj16ELj100EEvPKT0_PS4_S4_,"axG",@progbits,_Z6kernelI14exclusive_scanILN6hipcub18BlockScanAlgorithmE1EEhLj256ELj16ELj100EEvPKT0_PS4_S4_,comdat
.Lfunc_end155:
	.size	_Z6kernelI14exclusive_scanILN6hipcub18BlockScanAlgorithmE1EEhLj256ELj16ELj100EEvPKT0_PS4_S4_, .Lfunc_end155-_Z6kernelI14exclusive_scanILN6hipcub18BlockScanAlgorithmE1EEhLj256ELj16ELj100EEvPKT0_PS4_S4_
                                        ; -- End function
	.section	.AMDGPU.csdata,"",@progbits
; Kernel info:
; codeLenInByte = 1016
; NumSgprs: 18
; NumVgprs: 32
; NumAgprs: 0
; TotalNumVgprs: 32
; ScratchSize: 0
; MemoryBound: 0
; FloatMode: 240
; IeeeMode: 1
; LDSByteSize: 264 bytes/workgroup (compile time only)
; SGPRBlocks: 2
; VGPRBlocks: 3
; NumSGPRsForWavesPerEU: 18
; NumVGPRsForWavesPerEU: 32
; AccumOffset: 32
; Occupancy: 8
; WaveLimiterHint : 0
; COMPUTE_PGM_RSRC2:SCRATCH_EN: 0
; COMPUTE_PGM_RSRC2:USER_SGPR: 2
; COMPUTE_PGM_RSRC2:TRAP_HANDLER: 0
; COMPUTE_PGM_RSRC2:TGID_X_EN: 1
; COMPUTE_PGM_RSRC2:TGID_Y_EN: 0
; COMPUTE_PGM_RSRC2:TGID_Z_EN: 0
; COMPUTE_PGM_RSRC2:TIDIG_COMP_CNT: 0
; COMPUTE_PGM_RSRC3_GFX90A:ACCUM_OFFSET: 7
; COMPUTE_PGM_RSRC3_GFX90A:TG_SPLIT: 0
	.section	.text._Z6kernelI14exclusive_scanILN6hipcub18BlockScanAlgorithmE1EEN15benchmark_utils11custom_typeIffEELj256ELj1ELj100EEvPKT0_PS7_S7_,"axG",@progbits,_Z6kernelI14exclusive_scanILN6hipcub18BlockScanAlgorithmE1EEN15benchmark_utils11custom_typeIffEELj256ELj1ELj100EEvPKT0_PS7_S7_,comdat
	.protected	_Z6kernelI14exclusive_scanILN6hipcub18BlockScanAlgorithmE1EEN15benchmark_utils11custom_typeIffEELj256ELj1ELj100EEvPKT0_PS7_S7_ ; -- Begin function _Z6kernelI14exclusive_scanILN6hipcub18BlockScanAlgorithmE1EEN15benchmark_utils11custom_typeIffEELj256ELj1ELj100EEvPKT0_PS7_S7_
	.globl	_Z6kernelI14exclusive_scanILN6hipcub18BlockScanAlgorithmE1EEN15benchmark_utils11custom_typeIffEELj256ELj1ELj100EEvPKT0_PS7_S7_
	.p2align	8
	.type	_Z6kernelI14exclusive_scanILN6hipcub18BlockScanAlgorithmE1EEN15benchmark_utils11custom_typeIffEELj256ELj1ELj100EEvPKT0_PS7_S7_,@function
_Z6kernelI14exclusive_scanILN6hipcub18BlockScanAlgorithmE1EEN15benchmark_utils11custom_typeIffEELj256ELj1ELj100EEvPKT0_PS7_S7_: ; @_Z6kernelI14exclusive_scanILN6hipcub18BlockScanAlgorithmE1EEN15benchmark_utils11custom_typeIffEELj256ELj1ELj100EEvPKT0_PS7_S7_
; %bb.0:
	s_load_dwordx4 s[4:7], s[0:1], 0x0
	s_load_dword s3, s[0:1], 0x24
	s_load_dwordx2 s[8:9], s[0:1], 0x10
	v_mov_b32_e32 v3, 0
	v_lshrrev_b32_e32 v1, 5, v0
	s_waitcnt lgkmcnt(0)
	v_mov_b32_e32 v4, s4
	s_and_b32 s0, s3, 0xffff
	s_mul_i32 s2, s2, s0
	v_mov_b32_e32 v5, s5
	v_add_u32_e32 v2, s2, v0
	v_lshl_add_u64 v[4:5], v[2:3], 3, v[4:5]
	global_load_dwordx2 v[4:5], v[4:5], off
	v_add_lshl_u32 v1, v1, v0, 3
	v_cmp_gt_u32_e32 vcc, 64, v0
	v_cmp_ne_u32_e64 s[0:1], 0, v0
	v_cmp_eq_u32_e64 s[2:3], 0, v0
	v_lshlrev_b32_e32 v6, 2, v0
	v_lshrrev_b32_e32 v7, 3, v0
	v_add_u32_e32 v0, -1, v0
	v_add_lshl_u32 v6, v7, v6, 3
	v_lshrrev_b32_e32 v7, 5, v0
	v_add_lshl_u32 v0, v7, v0, 3
	v_mbcnt_lo_u32_b32 v7, -1, 0
	v_mbcnt_hi_u32_b32 v7, -1, v7
	s_movk_i32 s12, 0x64
	v_and_b32_e32 v8, 15, v7
	v_and_b32_e32 v9, 16, v7
	v_add_u32_e32 v10, -1, v7
	v_and_b32_e32 v11, 64, v7
	s_branch .LBB156_2
.LBB156_1:                              ;   in Loop: Header=BB156_2 Depth=1
	s_or_b64 exec, exec, s[4:5]
	s_add_i32 s12, s12, -1
	s_cmp_lg_u32 s12, 0
	s_cbranch_scc0 .LBB156_6
.LBB156_2:                              ; =>This Inner Loop Header: Depth=1
	s_waitcnt vmcnt(0)
	ds_write_b64 v1, v[4:5]
	s_waitcnt lgkmcnt(0)
	s_barrier
	s_and_saveexec_b64 s[10:11], vcc
	s_cbranch_execz .LBB156_4
; %bb.3:                                ;   in Loop: Header=BB156_2 Depth=1
	ds_read2_b64 v[12:15], v6 offset1:1
	ds_read2_b64 v[16:19], v6 offset0:2 offset1:3
	v_cmp_eq_u32_e64 s[4:5], 0, v8
	s_waitcnt lgkmcnt(1)
	v_pk_add_f32 v[20:21], v[12:13], v[14:15]
	s_waitcnt lgkmcnt(0)
	v_pk_add_f32 v[20:21], v[20:21], v[16:17]
	s_nop 0
	v_pk_add_f32 v[20:21], v[20:21], v[18:19]
	s_nop 1
	v_mov_b32_dpp v22, v20 row_shr:1 row_mask:0xf bank_mask:0xf
	v_mov_b32_dpp v23, v21 row_shr:1 row_mask:0xf bank_mask:0xf
	v_pk_add_f32 v[22:23], v[20:21], v[22:23]
	s_nop 0
	v_cndmask_b32_e64 v21, v23, v21, s[4:5]
	v_cndmask_b32_e64 v20, v22, v20, s[4:5]
	v_cmp_lt_u32_e64 s[4:5], 1, v8
	v_mov_b32_dpp v23, v21 row_shr:2 row_mask:0xf bank_mask:0xf
	v_mov_b32_dpp v22, v20 row_shr:2 row_mask:0xf bank_mask:0xf
	v_pk_add_f32 v[22:23], v[20:21], v[22:23]
	s_nop 0
	v_cndmask_b32_e64 v21, v21, v23, s[4:5]
	v_cndmask_b32_e64 v20, v20, v22, s[4:5]
	v_cmp_lt_u32_e64 s[4:5], 3, v8
	;; [unrolled: 7-line block ×3, first 2 shown]
	v_mov_b32_dpp v23, v21 row_shr:8 row_mask:0xf bank_mask:0xf
	v_mov_b32_dpp v22, v20 row_shr:8 row_mask:0xf bank_mask:0xf
	v_pk_add_f32 v[22:23], v[20:21], v[22:23]
	s_nop 0
	v_cndmask_b32_e64 v21, v21, v23, s[4:5]
	v_cndmask_b32_e64 v20, v20, v22, s[4:5]
	v_cmp_eq_u32_e64 s[4:5], 0, v9
	v_mov_b32_dpp v23, v21 row_bcast:15 row_mask:0xf bank_mask:0xf
	v_mov_b32_dpp v22, v20 row_bcast:15 row_mask:0xf bank_mask:0xf
	v_pk_add_f32 v[22:23], v[20:21], v[22:23]
	s_nop 0
	v_cndmask_b32_e64 v21, v23, v21, s[4:5]
	v_cndmask_b32_e64 v20, v22, v20, s[4:5]
	v_cmp_lt_u32_e64 s[4:5], 31, v7
	v_mov_b32_dpp v23, v21 row_bcast:31 row_mask:0xf bank_mask:0xf
	v_mov_b32_dpp v22, v20 row_bcast:31 row_mask:0xf bank_mask:0xf
	v_add_f32_e32 v23, v21, v23
	v_add_f32_e32 v22, v20, v22
	v_cndmask_b32_e64 v20, v20, v22, s[4:5]
	v_cndmask_b32_e64 v21, v21, v23, s[4:5]
	v_cmp_lt_i32_e64 s[4:5], v10, v11
	s_nop 1
	v_cndmask_b32_e64 v22, v10, v7, s[4:5]
	v_lshlrev_b32_e32 v22, 2, v22
	ds_bpermute_b32 v20, v22, v20
	ds_bpermute_b32 v21, v22, v21
	s_waitcnt lgkmcnt(0)
	v_pk_add_f32 v[12:13], v[12:13], v[20:21]
	s_nop 0
	v_cndmask_b32_e64 v5, v13, v5, s[2:3]
	v_cndmask_b32_e64 v4, v12, v4, s[2:3]
	v_pk_add_f32 v[12:13], v[14:15], v[4:5]
	ds_write2_b64 v6, v[4:5], v[12:13] offset1:1
	v_pk_add_f32 v[4:5], v[16:17], v[12:13]
	s_nop 0
	v_pk_add_f32 v[12:13], v[18:19], v[4:5]
	ds_write2_b64 v6, v[4:5], v[12:13] offset0:2 offset1:3
.LBB156_4:                              ;   in Loop: Header=BB156_2 Depth=1
	s_or_b64 exec, exec, s[10:11]
	v_mov_b64_e32 v[4:5], s[8:9]
	s_waitcnt lgkmcnt(0)
	s_barrier
	s_and_saveexec_b64 s[4:5], s[0:1]
	s_cbranch_execz .LBB156_1
; %bb.5:                                ;   in Loop: Header=BB156_2 Depth=1
	ds_read_b64 v[4:5], v0
	s_waitcnt lgkmcnt(0)
	v_pk_add_f32 v[4:5], s[8:9], v[4:5]
	s_branch .LBB156_1
.LBB156_6:
	v_mov_b32_e32 v0, s6
	v_mov_b32_e32 v1, s7
	v_lshl_add_u64 v[0:1], v[2:3], 3, v[0:1]
	global_store_dwordx2 v[0:1], v[4:5], off
	s_endpgm
	.section	.rodata,"a",@progbits
	.p2align	6, 0x0
	.amdhsa_kernel _Z6kernelI14exclusive_scanILN6hipcub18BlockScanAlgorithmE1EEN15benchmark_utils11custom_typeIffEELj256ELj1ELj100EEvPKT0_PS7_S7_
		.amdhsa_group_segment_fixed_size 2112
		.amdhsa_private_segment_fixed_size 0
		.amdhsa_kernarg_size 280
		.amdhsa_user_sgpr_count 2
		.amdhsa_user_sgpr_dispatch_ptr 0
		.amdhsa_user_sgpr_queue_ptr 0
		.amdhsa_user_sgpr_kernarg_segment_ptr 1
		.amdhsa_user_sgpr_dispatch_id 0
		.amdhsa_user_sgpr_kernarg_preload_length 0
		.amdhsa_user_sgpr_kernarg_preload_offset 0
		.amdhsa_user_sgpr_private_segment_size 0
		.amdhsa_uses_dynamic_stack 0
		.amdhsa_enable_private_segment 0
		.amdhsa_system_sgpr_workgroup_id_x 1
		.amdhsa_system_sgpr_workgroup_id_y 0
		.amdhsa_system_sgpr_workgroup_id_z 0
		.amdhsa_system_sgpr_workgroup_info 0
		.amdhsa_system_vgpr_workitem_id 0
		.amdhsa_next_free_vgpr 24
		.amdhsa_next_free_sgpr 13
		.amdhsa_accum_offset 24
		.amdhsa_reserve_vcc 1
		.amdhsa_float_round_mode_32 0
		.amdhsa_float_round_mode_16_64 0
		.amdhsa_float_denorm_mode_32 3
		.amdhsa_float_denorm_mode_16_64 3
		.amdhsa_dx10_clamp 1
		.amdhsa_ieee_mode 1
		.amdhsa_fp16_overflow 0
		.amdhsa_tg_split 0
		.amdhsa_exception_fp_ieee_invalid_op 0
		.amdhsa_exception_fp_denorm_src 0
		.amdhsa_exception_fp_ieee_div_zero 0
		.amdhsa_exception_fp_ieee_overflow 0
		.amdhsa_exception_fp_ieee_underflow 0
		.amdhsa_exception_fp_ieee_inexact 0
		.amdhsa_exception_int_div_zero 0
	.end_amdhsa_kernel
	.section	.text._Z6kernelI14exclusive_scanILN6hipcub18BlockScanAlgorithmE1EEN15benchmark_utils11custom_typeIffEELj256ELj1ELj100EEvPKT0_PS7_S7_,"axG",@progbits,_Z6kernelI14exclusive_scanILN6hipcub18BlockScanAlgorithmE1EEN15benchmark_utils11custom_typeIffEELj256ELj1ELj100EEvPKT0_PS7_S7_,comdat
.Lfunc_end156:
	.size	_Z6kernelI14exclusive_scanILN6hipcub18BlockScanAlgorithmE1EEN15benchmark_utils11custom_typeIffEELj256ELj1ELj100EEvPKT0_PS7_S7_, .Lfunc_end156-_Z6kernelI14exclusive_scanILN6hipcub18BlockScanAlgorithmE1EEN15benchmark_utils11custom_typeIffEELj256ELj1ELj100EEvPKT0_PS7_S7_
                                        ; -- End function
	.section	.AMDGPU.csdata,"",@progbits
; Kernel info:
; codeLenInByte = 776
; NumSgprs: 19
; NumVgprs: 24
; NumAgprs: 0
; TotalNumVgprs: 24
; ScratchSize: 0
; MemoryBound: 0
; FloatMode: 240
; IeeeMode: 1
; LDSByteSize: 2112 bytes/workgroup (compile time only)
; SGPRBlocks: 2
; VGPRBlocks: 2
; NumSGPRsForWavesPerEU: 19
; NumVGPRsForWavesPerEU: 24
; AccumOffset: 24
; Occupancy: 8
; WaveLimiterHint : 0
; COMPUTE_PGM_RSRC2:SCRATCH_EN: 0
; COMPUTE_PGM_RSRC2:USER_SGPR: 2
; COMPUTE_PGM_RSRC2:TRAP_HANDLER: 0
; COMPUTE_PGM_RSRC2:TGID_X_EN: 1
; COMPUTE_PGM_RSRC2:TGID_Y_EN: 0
; COMPUTE_PGM_RSRC2:TGID_Z_EN: 0
; COMPUTE_PGM_RSRC2:TIDIG_COMP_CNT: 0
; COMPUTE_PGM_RSRC3_GFX90A:ACCUM_OFFSET: 5
; COMPUTE_PGM_RSRC3_GFX90A:TG_SPLIT: 0
	.section	.text._Z6kernelI14exclusive_scanILN6hipcub18BlockScanAlgorithmE1EEN15benchmark_utils11custom_typeIffEELj256ELj4ELj100EEvPKT0_PS7_S7_,"axG",@progbits,_Z6kernelI14exclusive_scanILN6hipcub18BlockScanAlgorithmE1EEN15benchmark_utils11custom_typeIffEELj256ELj4ELj100EEvPKT0_PS7_S7_,comdat
	.protected	_Z6kernelI14exclusive_scanILN6hipcub18BlockScanAlgorithmE1EEN15benchmark_utils11custom_typeIffEELj256ELj4ELj100EEvPKT0_PS7_S7_ ; -- Begin function _Z6kernelI14exclusive_scanILN6hipcub18BlockScanAlgorithmE1EEN15benchmark_utils11custom_typeIffEELj256ELj4ELj100EEvPKT0_PS7_S7_
	.globl	_Z6kernelI14exclusive_scanILN6hipcub18BlockScanAlgorithmE1EEN15benchmark_utils11custom_typeIffEELj256ELj4ELj100EEvPKT0_PS7_S7_
	.p2align	8
	.type	_Z6kernelI14exclusive_scanILN6hipcub18BlockScanAlgorithmE1EEN15benchmark_utils11custom_typeIffEELj256ELj4ELj100EEvPKT0_PS7_S7_,@function
_Z6kernelI14exclusive_scanILN6hipcub18BlockScanAlgorithmE1EEN15benchmark_utils11custom_typeIffEELj256ELj4ELj100EEvPKT0_PS7_S7_: ; @_Z6kernelI14exclusive_scanILN6hipcub18BlockScanAlgorithmE1EEN15benchmark_utils11custom_typeIffEELj256ELj4ELj100EEvPKT0_PS7_S7_
; %bb.0:
	s_load_dwordx4 s[4:7], s[0:1], 0x0
	s_load_dword s3, s[0:1], 0x24
	s_load_dwordx2 s[8:9], s[0:1], 0x10
	v_mov_b32_e32 v15, 0
	v_lshrrev_b32_e32 v1, 5, v0
	s_waitcnt lgkmcnt(0)
	v_mov_b32_e32 v2, s4
	s_and_b32 s0, s3, 0xffff
	s_mul_i32 s2, s2, s0
	v_mov_b32_e32 v3, s5
	v_add_lshl_u32 v14, s2, v0, 2
	v_lshl_add_u64 v[10:11], v[14:15], 3, v[2:3]
	global_load_dwordx4 v[2:5], v[10:11], off offset:16
	global_load_dwordx4 v[6:9], v[10:11], off
	v_add_lshl_u32 v16, v1, v0, 3
	v_cmp_gt_u32_e32 vcc, 64, v0
	v_cmp_ne_u32_e64 s[0:1], 0, v0
	v_cmp_eq_u32_e64 s[2:3], 0, v0
	v_lshlrev_b32_e32 v1, 2, v0
	v_lshrrev_b32_e32 v10, 3, v0
	v_add_u32_e32 v0, -1, v0
	v_add_lshl_u32 v17, v10, v1, 3
	v_lshrrev_b32_e32 v1, 5, v0
	v_add_lshl_u32 v18, v1, v0, 3
	v_mbcnt_lo_u32_b32 v0, -1, 0
	v_mbcnt_hi_u32_b32 v19, -1, v0
	s_movk_i32 s12, 0x64
	v_and_b32_e32 v20, 15, v19
	v_and_b32_e32 v21, 16, v19
	v_add_u32_e32 v22, -1, v19
	v_and_b32_e32 v23, 64, v19
.LBB157_1:                              ; =>This Inner Loop Header: Depth=1
	s_waitcnt vmcnt(0)
	v_pk_add_f32 v[0:1], v[8:9], v[6:7]
	s_nop 0
	v_pk_add_f32 v[0:1], v[2:3], v[0:1]
	s_nop 0
	v_pk_add_f32 v[0:1], v[4:5], v[0:1]
	ds_write_b64 v16, v[0:1]
	s_waitcnt lgkmcnt(0)
	s_barrier
	s_and_saveexec_b64 s[10:11], vcc
	s_cbranch_execz .LBB157_3
; %bb.2:                                ;   in Loop: Header=BB157_1 Depth=1
	ds_read2_b64 v[10:13], v17 offset1:1
	ds_read2_b64 v[24:27], v17 offset0:2 offset1:3
	v_cmp_eq_u32_e64 s[4:5], 0, v20
	s_waitcnt lgkmcnt(1)
	v_pk_add_f32 v[4:5], v[10:11], v[12:13]
	s_waitcnt lgkmcnt(0)
	v_pk_add_f32 v[4:5], v[4:5], v[24:25]
	s_nop 0
	v_pk_add_f32 v[4:5], v[4:5], v[26:27]
	s_nop 1
	v_mov_b32_dpp v28, v4 row_shr:1 row_mask:0xf bank_mask:0xf
	v_mov_b32_dpp v29, v5 row_shr:1 row_mask:0xf bank_mask:0xf
	v_pk_add_f32 v[28:29], v[4:5], v[28:29]
	s_nop 0
	v_cndmask_b32_e64 v5, v29, v5, s[4:5]
	v_cndmask_b32_e64 v4, v28, v4, s[4:5]
	v_cmp_lt_u32_e64 s[4:5], 1, v20
	v_mov_b32_dpp v29, v5 row_shr:2 row_mask:0xf bank_mask:0xf
	v_mov_b32_dpp v28, v4 row_shr:2 row_mask:0xf bank_mask:0xf
	v_pk_add_f32 v[28:29], v[4:5], v[28:29]
	s_nop 0
	v_cndmask_b32_e64 v5, v5, v29, s[4:5]
	v_cndmask_b32_e64 v4, v4, v28, s[4:5]
	v_cmp_lt_u32_e64 s[4:5], 3, v20
	;; [unrolled: 7-line block ×3, first 2 shown]
	v_mov_b32_dpp v29, v5 row_shr:8 row_mask:0xf bank_mask:0xf
	v_mov_b32_dpp v28, v4 row_shr:8 row_mask:0xf bank_mask:0xf
	v_pk_add_f32 v[28:29], v[4:5], v[28:29]
	s_nop 0
	v_cndmask_b32_e64 v5, v5, v29, s[4:5]
	v_cndmask_b32_e64 v4, v4, v28, s[4:5]
	v_cmp_eq_u32_e64 s[4:5], 0, v21
	v_mov_b32_dpp v29, v5 row_bcast:15 row_mask:0xf bank_mask:0xf
	v_mov_b32_dpp v28, v4 row_bcast:15 row_mask:0xf bank_mask:0xf
	v_pk_add_f32 v[28:29], v[4:5], v[28:29]
	s_nop 0
	v_cndmask_b32_e64 v5, v29, v5, s[4:5]
	v_cndmask_b32_e64 v4, v28, v4, s[4:5]
	v_cmp_lt_u32_e64 s[4:5], 31, v19
	v_mov_b32_dpp v29, v5 row_bcast:31 row_mask:0xf bank_mask:0xf
	v_mov_b32_dpp v28, v4 row_bcast:31 row_mask:0xf bank_mask:0xf
	v_add_f32_e32 v29, v5, v29
	v_add_f32_e32 v28, v4, v28
	v_cndmask_b32_e64 v4, v4, v28, s[4:5]
	v_cndmask_b32_e64 v5, v5, v29, s[4:5]
	v_cmp_lt_i32_e64 s[4:5], v22, v23
	s_nop 1
	v_cndmask_b32_e64 v28, v22, v19, s[4:5]
	v_lshlrev_b32_e32 v28, 2, v28
	ds_bpermute_b32 v4, v28, v4
	ds_bpermute_b32 v5, v28, v5
	s_waitcnt lgkmcnt(0)
	v_pk_add_f32 v[4:5], v[10:11], v[4:5]
	s_nop 0
	v_cndmask_b32_e64 v1, v5, v1, s[2:3]
	v_cndmask_b32_e64 v0, v4, v0, s[2:3]
	v_pk_add_f32 v[4:5], v[12:13], v[0:1]
	ds_write2_b64 v17, v[0:1], v[4:5] offset1:1
	v_pk_add_f32 v[0:1], v[24:25], v[4:5]
	s_nop 0
	v_pk_add_f32 v[4:5], v[26:27], v[0:1]
	ds_write2_b64 v17, v[0:1], v[4:5] offset0:2 offset1:3
.LBB157_3:                              ;   in Loop: Header=BB157_1 Depth=1
	s_or_b64 exec, exec, s[10:11]
	v_mov_b64_e32 v[10:11], s[8:9]
	s_waitcnt lgkmcnt(0)
	s_barrier
	s_and_saveexec_b64 s[4:5], s[0:1]
	s_cbranch_execz .LBB157_5
; %bb.4:                                ;   in Loop: Header=BB157_1 Depth=1
	ds_read_b64 v[0:1], v18
	s_waitcnt lgkmcnt(0)
	v_pk_add_f32 v[10:11], s[8:9], v[0:1]
.LBB157_5:                              ;   in Loop: Header=BB157_1 Depth=1
	s_or_b64 exec, exec, s[4:5]
	v_pk_add_f32 v[12:13], v[6:7], v[10:11]
	s_add_i32 s12, s12, -1
	v_pk_add_f32 v[0:1], v[8:9], v[12:13]
	s_cmp_lg_u32 s12, 0
	v_pk_add_f32 v[4:5], v[2:3], v[0:1]
	s_cbranch_scc0 .LBB157_7
; %bb.6:                                ;   in Loop: Header=BB157_1 Depth=1
	v_mov_b64_e32 v[6:7], v[10:11]
	v_mov_b64_e32 v[8:9], v[12:13]
	;; [unrolled: 1-line block ×3, first 2 shown]
	s_branch .LBB157_1
.LBB157_7:
	v_mov_b32_e32 v2, s6
	v_mov_b32_e32 v3, s7
	v_lshl_add_u64 v[6:7], v[14:15], 3, v[2:3]
	v_mov_b32_e32 v2, v4
	v_mov_b32_e32 v3, v5
	global_store_dwordx4 v[6:7], v[10:13], off
	global_store_dwordx4 v[6:7], v[0:3], off offset:16
	s_endpgm
	.section	.rodata,"a",@progbits
	.p2align	6, 0x0
	.amdhsa_kernel _Z6kernelI14exclusive_scanILN6hipcub18BlockScanAlgorithmE1EEN15benchmark_utils11custom_typeIffEELj256ELj4ELj100EEvPKT0_PS7_S7_
		.amdhsa_group_segment_fixed_size 2112
		.amdhsa_private_segment_fixed_size 0
		.amdhsa_kernarg_size 280
		.amdhsa_user_sgpr_count 2
		.amdhsa_user_sgpr_dispatch_ptr 0
		.amdhsa_user_sgpr_queue_ptr 0
		.amdhsa_user_sgpr_kernarg_segment_ptr 1
		.amdhsa_user_sgpr_dispatch_id 0
		.amdhsa_user_sgpr_kernarg_preload_length 0
		.amdhsa_user_sgpr_kernarg_preload_offset 0
		.amdhsa_user_sgpr_private_segment_size 0
		.amdhsa_uses_dynamic_stack 0
		.amdhsa_enable_private_segment 0
		.amdhsa_system_sgpr_workgroup_id_x 1
		.amdhsa_system_sgpr_workgroup_id_y 0
		.amdhsa_system_sgpr_workgroup_id_z 0
		.amdhsa_system_sgpr_workgroup_info 0
		.amdhsa_system_vgpr_workitem_id 0
		.amdhsa_next_free_vgpr 30
		.amdhsa_next_free_sgpr 13
		.amdhsa_accum_offset 32
		.amdhsa_reserve_vcc 1
		.amdhsa_float_round_mode_32 0
		.amdhsa_float_round_mode_16_64 0
		.amdhsa_float_denorm_mode_32 3
		.amdhsa_float_denorm_mode_16_64 3
		.amdhsa_dx10_clamp 1
		.amdhsa_ieee_mode 1
		.amdhsa_fp16_overflow 0
		.amdhsa_tg_split 0
		.amdhsa_exception_fp_ieee_invalid_op 0
		.amdhsa_exception_fp_denorm_src 0
		.amdhsa_exception_fp_ieee_div_zero 0
		.amdhsa_exception_fp_ieee_overflow 0
		.amdhsa_exception_fp_ieee_underflow 0
		.amdhsa_exception_fp_ieee_inexact 0
		.amdhsa_exception_int_div_zero 0
	.end_amdhsa_kernel
	.section	.text._Z6kernelI14exclusive_scanILN6hipcub18BlockScanAlgorithmE1EEN15benchmark_utils11custom_typeIffEELj256ELj4ELj100EEvPKT0_PS7_S7_,"axG",@progbits,_Z6kernelI14exclusive_scanILN6hipcub18BlockScanAlgorithmE1EEN15benchmark_utils11custom_typeIffEELj256ELj4ELj100EEvPKT0_PS7_S7_,comdat
.Lfunc_end157:
	.size	_Z6kernelI14exclusive_scanILN6hipcub18BlockScanAlgorithmE1EEN15benchmark_utils11custom_typeIffEELj256ELj4ELj100EEvPKT0_PS7_S7_, .Lfunc_end157-_Z6kernelI14exclusive_scanILN6hipcub18BlockScanAlgorithmE1EEN15benchmark_utils11custom_typeIffEELj256ELj4ELj100EEvPKT0_PS7_S7_
                                        ; -- End function
	.section	.AMDGPU.csdata,"",@progbits
; Kernel info:
; codeLenInByte = 868
; NumSgprs: 19
; NumVgprs: 30
; NumAgprs: 0
; TotalNumVgprs: 30
; ScratchSize: 0
; MemoryBound: 0
; FloatMode: 240
; IeeeMode: 1
; LDSByteSize: 2112 bytes/workgroup (compile time only)
; SGPRBlocks: 2
; VGPRBlocks: 3
; NumSGPRsForWavesPerEU: 19
; NumVGPRsForWavesPerEU: 30
; AccumOffset: 32
; Occupancy: 8
; WaveLimiterHint : 0
; COMPUTE_PGM_RSRC2:SCRATCH_EN: 0
; COMPUTE_PGM_RSRC2:USER_SGPR: 2
; COMPUTE_PGM_RSRC2:TRAP_HANDLER: 0
; COMPUTE_PGM_RSRC2:TGID_X_EN: 1
; COMPUTE_PGM_RSRC2:TGID_Y_EN: 0
; COMPUTE_PGM_RSRC2:TGID_Z_EN: 0
; COMPUTE_PGM_RSRC2:TIDIG_COMP_CNT: 0
; COMPUTE_PGM_RSRC3_GFX90A:ACCUM_OFFSET: 7
; COMPUTE_PGM_RSRC3_GFX90A:TG_SPLIT: 0
	.section	.text._Z6kernelI14exclusive_scanILN6hipcub18BlockScanAlgorithmE1EEN15benchmark_utils11custom_typeIffEELj256ELj8ELj100EEvPKT0_PS7_S7_,"axG",@progbits,_Z6kernelI14exclusive_scanILN6hipcub18BlockScanAlgorithmE1EEN15benchmark_utils11custom_typeIffEELj256ELj8ELj100EEvPKT0_PS7_S7_,comdat
	.protected	_Z6kernelI14exclusive_scanILN6hipcub18BlockScanAlgorithmE1EEN15benchmark_utils11custom_typeIffEELj256ELj8ELj100EEvPKT0_PS7_S7_ ; -- Begin function _Z6kernelI14exclusive_scanILN6hipcub18BlockScanAlgorithmE1EEN15benchmark_utils11custom_typeIffEELj256ELj8ELj100EEvPKT0_PS7_S7_
	.globl	_Z6kernelI14exclusive_scanILN6hipcub18BlockScanAlgorithmE1EEN15benchmark_utils11custom_typeIffEELj256ELj8ELj100EEvPKT0_PS7_S7_
	.p2align	8
	.type	_Z6kernelI14exclusive_scanILN6hipcub18BlockScanAlgorithmE1EEN15benchmark_utils11custom_typeIffEELj256ELj8ELj100EEvPKT0_PS7_S7_,@function
_Z6kernelI14exclusive_scanILN6hipcub18BlockScanAlgorithmE1EEN15benchmark_utils11custom_typeIffEELj256ELj8ELj100EEvPKT0_PS7_S7_: ; @_Z6kernelI14exclusive_scanILN6hipcub18BlockScanAlgorithmE1EEN15benchmark_utils11custom_typeIffEELj256ELj8ELj100EEvPKT0_PS7_S7_
; %bb.0:
	s_load_dwordx4 s[4:7], s[0:1], 0x0
	s_load_dword s3, s[0:1], 0x24
	s_load_dwordx2 s[8:9], s[0:1], 0x10
	v_mov_b32_e32 v31, 0
	v_lshrrev_b32_e32 v1, 5, v0
	s_waitcnt lgkmcnt(0)
	v_mov_b32_e32 v2, s4
	s_and_b32 s0, s3, 0xffff
	s_mul_i32 s2, s2, s0
	v_mov_b32_e32 v3, s5
	v_add_lshl_u32 v30, s2, v0, 3
	v_lshl_add_u64 v[18:19], v[30:31], 3, v[2:3]
	global_load_dwordx4 v[2:5], v[18:19], off offset:48
	global_load_dwordx4 v[6:9], v[18:19], off offset:32
	;; [unrolled: 1-line block ×3, first 2 shown]
	global_load_dwordx4 v[14:17], v[18:19], off
	v_add_lshl_u32 v32, v1, v0, 3
	v_cmp_gt_u32_e32 vcc, 64, v0
	v_cmp_ne_u32_e64 s[0:1], 0, v0
	v_cmp_eq_u32_e64 s[2:3], 0, v0
	v_lshlrev_b32_e32 v1, 2, v0
	v_lshrrev_b32_e32 v18, 3, v0
	v_add_u32_e32 v0, -1, v0
	v_add_lshl_u32 v33, v18, v1, 3
	v_lshrrev_b32_e32 v1, 5, v0
	v_add_lshl_u32 v34, v1, v0, 3
	v_mbcnt_lo_u32_b32 v0, -1, 0
	s_movk_i32 s12, 0x64
	v_mbcnt_hi_u32_b32 v35, -1, v0
.LBB158_1:                              ; =>This Inner Loop Header: Depth=1
	s_waitcnt vmcnt(0)
	v_pk_add_f32 v[0:1], v[16:17], v[14:15]
	s_nop 0
	v_pk_add_f32 v[0:1], v[10:11], v[0:1]
	s_nop 0
	;; [unrolled: 2-line block ×6, first 2 shown]
	v_pk_add_f32 v[0:1], v[4:5], v[0:1]
	ds_write_b64 v32, v[0:1]
	s_waitcnt lgkmcnt(0)
	s_barrier
	s_and_saveexec_b64 s[10:11], vcc
	s_cbranch_execz .LBB158_3
; %bb.2:                                ;   in Loop: Header=BB158_1 Depth=1
	ds_read2_b64 v[18:21], v33 offset1:1
	ds_read2_b64 v[22:25], v33 offset0:2 offset1:3
	v_and_b32_e32 v28, 15, v35
	v_cmp_eq_u32_e64 s[4:5], 0, v28
	s_waitcnt lgkmcnt(1)
	v_pk_add_f32 v[4:5], v[18:19], v[20:21]
	s_waitcnt lgkmcnt(0)
	v_pk_add_f32 v[4:5], v[4:5], v[22:23]
	s_nop 0
	v_pk_add_f32 v[4:5], v[4:5], v[24:25]
	s_nop 1
	v_mov_b32_dpp v26, v4 row_shr:1 row_mask:0xf bank_mask:0xf
	v_mov_b32_dpp v27, v5 row_shr:1 row_mask:0xf bank_mask:0xf
	v_pk_add_f32 v[26:27], v[4:5], v[26:27]
	s_nop 0
	v_cndmask_b32_e64 v5, v27, v5, s[4:5]
	v_cndmask_b32_e64 v4, v26, v4, s[4:5]
	v_cmp_lt_u32_e64 s[4:5], 1, v28
	v_mov_b32_dpp v27, v5 row_shr:2 row_mask:0xf bank_mask:0xf
	v_mov_b32_dpp v26, v4 row_shr:2 row_mask:0xf bank_mask:0xf
	v_pk_add_f32 v[26:27], v[4:5], v[26:27]
	s_nop 0
	v_cndmask_b32_e64 v5, v5, v27, s[4:5]
	v_cndmask_b32_e64 v4, v4, v26, s[4:5]
	v_cmp_lt_u32_e64 s[4:5], 3, v28
	v_mov_b32_dpp v27, v5 row_shr:4 row_mask:0xf bank_mask:0xf
	v_mov_b32_dpp v26, v4 row_shr:4 row_mask:0xf bank_mask:0xf
	v_pk_add_f32 v[26:27], v[4:5], v[26:27]
	s_nop 0
	v_cndmask_b32_e64 v5, v5, v27, s[4:5]
	v_cndmask_b32_e64 v4, v4, v26, s[4:5]
	v_cmp_lt_u32_e64 s[4:5], 7, v28
	v_mov_b32_dpp v27, v5 row_shr:8 row_mask:0xf bank_mask:0xf
	v_mov_b32_dpp v26, v4 row_shr:8 row_mask:0xf bank_mask:0xf
	v_pk_add_f32 v[26:27], v[4:5], v[26:27]
	v_and_b32_e32 v28, 16, v35
	v_cndmask_b32_e64 v5, v5, v27, s[4:5]
	v_cndmask_b32_e64 v4, v4, v26, s[4:5]
	v_cmp_eq_u32_e64 s[4:5], 0, v28
	v_mov_b32_dpp v27, v5 row_bcast:15 row_mask:0xf bank_mask:0xf
	v_mov_b32_dpp v26, v4 row_bcast:15 row_mask:0xf bank_mask:0xf
	v_pk_add_f32 v[26:27], v[4:5], v[26:27]
	s_nop 0
	v_cndmask_b32_e64 v5, v27, v5, s[4:5]
	v_cndmask_b32_e64 v4, v26, v4, s[4:5]
	v_cmp_lt_u32_e64 s[4:5], 31, v35
	v_mov_b32_dpp v27, v5 row_bcast:31 row_mask:0xf bank_mask:0xf
	v_mov_b32_dpp v26, v4 row_bcast:31 row_mask:0xf bank_mask:0xf
	v_add_f32_e32 v27, v5, v27
	v_add_f32_e32 v26, v4, v26
	v_cndmask_b32_e64 v4, v4, v26, s[4:5]
	v_cndmask_b32_e64 v5, v5, v27, s[4:5]
	v_add_u32_e32 v26, -1, v35
	v_and_b32_e32 v27, 64, v35
	v_cmp_lt_i32_e64 s[4:5], v26, v27
	s_nop 1
	v_cndmask_b32_e64 v26, v26, v35, s[4:5]
	v_lshlrev_b32_e32 v26, 2, v26
	ds_bpermute_b32 v4, v26, v4
	ds_bpermute_b32 v5, v26, v5
	s_waitcnt lgkmcnt(0)
	v_pk_add_f32 v[4:5], v[18:19], v[4:5]
	s_nop 0
	v_cndmask_b32_e64 v1, v5, v1, s[2:3]
	v_cndmask_b32_e64 v0, v4, v0, s[2:3]
	v_pk_add_f32 v[4:5], v[20:21], v[0:1]
	ds_write2_b64 v33, v[0:1], v[4:5] offset1:1
	v_pk_add_f32 v[0:1], v[22:23], v[4:5]
	s_nop 0
	v_pk_add_f32 v[4:5], v[24:25], v[0:1]
	ds_write2_b64 v33, v[0:1], v[4:5] offset0:2 offset1:3
.LBB158_3:                              ;   in Loop: Header=BB158_1 Depth=1
	s_or_b64 exec, exec, s[10:11]
	v_mov_b64_e32 v[22:23], s[8:9]
	s_waitcnt lgkmcnt(0)
	s_barrier
	s_and_saveexec_b64 s[4:5], s[0:1]
	s_cbranch_execz .LBB158_5
; %bb.4:                                ;   in Loop: Header=BB158_1 Depth=1
	ds_read_b64 v[0:1], v34
	s_waitcnt lgkmcnt(0)
	v_pk_add_f32 v[22:23], s[8:9], v[0:1]
.LBB158_5:                              ;   in Loop: Header=BB158_1 Depth=1
	s_or_b64 exec, exec, s[4:5]
	v_pk_add_f32 v[24:25], v[14:15], v[22:23]
	s_add_i32 s12, s12, -1
	v_pk_add_f32 v[26:27], v[16:17], v[24:25]
	s_cmp_lg_u32 s12, 0
	v_pk_add_f32 v[28:29], v[10:11], v[26:27]
	s_nop 0
	v_pk_add_f32 v[18:19], v[12:13], v[28:29]
	s_nop 0
	v_pk_add_f32 v[20:21], v[6:7], v[18:19]
	s_nop 0
	v_pk_add_f32 v[0:1], v[8:9], v[20:21]
	s_nop 0
	v_pk_add_f32 v[4:5], v[2:3], v[0:1]
	s_cbranch_scc0 .LBB158_7
; %bb.6:                                ;   in Loop: Header=BB158_1 Depth=1
	v_mov_b64_e32 v[14:15], v[22:23]
	v_mov_b64_e32 v[16:17], v[24:25]
	;; [unrolled: 1-line block ×7, first 2 shown]
	s_branch .LBB158_1
.LBB158_7:
	v_mov_b32_e32 v2, s6
	v_mov_b32_e32 v3, s7
	v_lshl_add_u64 v[6:7], v[30:31], 3, v[2:3]
	v_mov_b32_e32 v2, v4
	v_mov_b32_e32 v3, v5
	global_store_dwordx4 v[6:7], v[22:25], off
	global_store_dwordx4 v[6:7], v[26:29], off offset:16
	global_store_dwordx4 v[6:7], v[18:21], off offset:32
	;; [unrolled: 1-line block ×3, first 2 shown]
	s_endpgm
	.section	.rodata,"a",@progbits
	.p2align	6, 0x0
	.amdhsa_kernel _Z6kernelI14exclusive_scanILN6hipcub18BlockScanAlgorithmE1EEN15benchmark_utils11custom_typeIffEELj256ELj8ELj100EEvPKT0_PS7_S7_
		.amdhsa_group_segment_fixed_size 2112
		.amdhsa_private_segment_fixed_size 0
		.amdhsa_kernarg_size 280
		.amdhsa_user_sgpr_count 2
		.amdhsa_user_sgpr_dispatch_ptr 0
		.amdhsa_user_sgpr_queue_ptr 0
		.amdhsa_user_sgpr_kernarg_segment_ptr 1
		.amdhsa_user_sgpr_dispatch_id 0
		.amdhsa_user_sgpr_kernarg_preload_length 0
		.amdhsa_user_sgpr_kernarg_preload_offset 0
		.amdhsa_user_sgpr_private_segment_size 0
		.amdhsa_uses_dynamic_stack 0
		.amdhsa_enable_private_segment 0
		.amdhsa_system_sgpr_workgroup_id_x 1
		.amdhsa_system_sgpr_workgroup_id_y 0
		.amdhsa_system_sgpr_workgroup_id_z 0
		.amdhsa_system_sgpr_workgroup_info 0
		.amdhsa_system_vgpr_workitem_id 0
		.amdhsa_next_free_vgpr 36
		.amdhsa_next_free_sgpr 13
		.amdhsa_accum_offset 36
		.amdhsa_reserve_vcc 1
		.amdhsa_float_round_mode_32 0
		.amdhsa_float_round_mode_16_64 0
		.amdhsa_float_denorm_mode_32 3
		.amdhsa_float_denorm_mode_16_64 3
		.amdhsa_dx10_clamp 1
		.amdhsa_ieee_mode 1
		.amdhsa_fp16_overflow 0
		.amdhsa_tg_split 0
		.amdhsa_exception_fp_ieee_invalid_op 0
		.amdhsa_exception_fp_denorm_src 0
		.amdhsa_exception_fp_ieee_div_zero 0
		.amdhsa_exception_fp_ieee_overflow 0
		.amdhsa_exception_fp_ieee_underflow 0
		.amdhsa_exception_fp_ieee_inexact 0
		.amdhsa_exception_int_div_zero 0
	.end_amdhsa_kernel
	.section	.text._Z6kernelI14exclusive_scanILN6hipcub18BlockScanAlgorithmE1EEN15benchmark_utils11custom_typeIffEELj256ELj8ELj100EEvPKT0_PS7_S7_,"axG",@progbits,_Z6kernelI14exclusive_scanILN6hipcub18BlockScanAlgorithmE1EEN15benchmark_utils11custom_typeIffEELj256ELj8ELj100EEvPKT0_PS7_S7_,comdat
.Lfunc_end158:
	.size	_Z6kernelI14exclusive_scanILN6hipcub18BlockScanAlgorithmE1EEN15benchmark_utils11custom_typeIffEELj256ELj8ELj100EEvPKT0_PS7_S7_, .Lfunc_end158-_Z6kernelI14exclusive_scanILN6hipcub18BlockScanAlgorithmE1EEN15benchmark_utils11custom_typeIffEELj256ELj8ELj100EEvPKT0_PS7_S7_
                                        ; -- End function
	.section	.AMDGPU.csdata,"",@progbits
; Kernel info:
; codeLenInByte = 1008
; NumSgprs: 19
; NumVgprs: 36
; NumAgprs: 0
; TotalNumVgprs: 36
; ScratchSize: 0
; MemoryBound: 0
; FloatMode: 240
; IeeeMode: 1
; LDSByteSize: 2112 bytes/workgroup (compile time only)
; SGPRBlocks: 2
; VGPRBlocks: 4
; NumSGPRsForWavesPerEU: 19
; NumVGPRsForWavesPerEU: 36
; AccumOffset: 36
; Occupancy: 8
; WaveLimiterHint : 0
; COMPUTE_PGM_RSRC2:SCRATCH_EN: 0
; COMPUTE_PGM_RSRC2:USER_SGPR: 2
; COMPUTE_PGM_RSRC2:TRAP_HANDLER: 0
; COMPUTE_PGM_RSRC2:TGID_X_EN: 1
; COMPUTE_PGM_RSRC2:TGID_Y_EN: 0
; COMPUTE_PGM_RSRC2:TGID_Z_EN: 0
; COMPUTE_PGM_RSRC2:TIDIG_COMP_CNT: 0
; COMPUTE_PGM_RSRC3_GFX90A:ACCUM_OFFSET: 8
; COMPUTE_PGM_RSRC3_GFX90A:TG_SPLIT: 0
	.section	.text._Z6kernelI14exclusive_scanILN6hipcub18BlockScanAlgorithmE1EEN15benchmark_utils11custom_typeIddEELj256ELj1ELj100EEvPKT0_PS7_S7_,"axG",@progbits,_Z6kernelI14exclusive_scanILN6hipcub18BlockScanAlgorithmE1EEN15benchmark_utils11custom_typeIddEELj256ELj1ELj100EEvPKT0_PS7_S7_,comdat
	.protected	_Z6kernelI14exclusive_scanILN6hipcub18BlockScanAlgorithmE1EEN15benchmark_utils11custom_typeIddEELj256ELj1ELj100EEvPKT0_PS7_S7_ ; -- Begin function _Z6kernelI14exclusive_scanILN6hipcub18BlockScanAlgorithmE1EEN15benchmark_utils11custom_typeIddEELj256ELj1ELj100EEvPKT0_PS7_S7_
	.globl	_Z6kernelI14exclusive_scanILN6hipcub18BlockScanAlgorithmE1EEN15benchmark_utils11custom_typeIddEELj256ELj1ELj100EEvPKT0_PS7_S7_
	.p2align	8
	.type	_Z6kernelI14exclusive_scanILN6hipcub18BlockScanAlgorithmE1EEN15benchmark_utils11custom_typeIddEELj256ELj1ELj100EEvPKT0_PS7_S7_,@function
_Z6kernelI14exclusive_scanILN6hipcub18BlockScanAlgorithmE1EEN15benchmark_utils11custom_typeIddEELj256ELj1ELj100EEvPKT0_PS7_S7_: ; @_Z6kernelI14exclusive_scanILN6hipcub18BlockScanAlgorithmE1EEN15benchmark_utils11custom_typeIddEELj256ELj1ELj100EEvPKT0_PS7_S7_
; %bb.0:
	s_load_dwordx8 s[4:11], s[0:1], 0x0
	s_load_dword s3, s[0:1], 0x2c
	v_mov_b32_e32 v23, 0
	v_lshrrev_b32_e32 v1, 5, v0
	v_add_lshl_u32 v30, v1, v0, 4
	s_waitcnt lgkmcnt(0)
	v_mov_b32_e32 v2, s4
	s_and_b32 s0, s3, 0xffff
	s_mul_i32 s2, s2, s0
	v_mov_b32_e32 v3, s5
	v_add_u32_e32 v22, s2, v0
	v_lshl_add_u64 v[2:3], v[22:23], 4, v[2:3]
	global_load_dwordx4 v[2:5], v[2:3], off
	v_cmp_gt_u32_e32 vcc, 64, v0
	v_cmp_eq_u32_e64 s[0:1], 0, v0
	v_cmp_ne_u32_e64 s[2:3], 0, v0
	v_lshlrev_b32_e32 v1, 2, v0
	v_lshrrev_b32_e32 v6, 3, v0
	v_add_u32_e32 v0, -1, v0
	v_add_lshl_u32 v31, v6, v1, 4
	v_lshrrev_b32_e32 v1, 5, v0
	v_add_lshl_u32 v32, v1, v0, 4
	v_mbcnt_lo_u32_b32 v0, -1, 0
	v_mbcnt_hi_u32_b32 v33, -1, v0
	s_movk_i32 s16, 0x64
	v_and_b32_e32 v34, 15, v33
	s_branch .LBB159_2
.LBB159_1:                              ;   in Loop: Header=BB159_2 Depth=1
	s_or_b64 exec, exec, s[4:5]
	s_add_i32 s16, s16, -1
	s_cmp_lg_u32 s16, 0
	s_cbranch_scc0 .LBB159_18
.LBB159_2:                              ; =>This Inner Loop Header: Depth=1
	s_waitcnt vmcnt(0)
	ds_write2_b64 v30, v[2:3], v[4:5] offset1:1
	s_waitcnt lgkmcnt(0)
	s_barrier
	s_and_saveexec_b64 s[12:13], vcc
	s_cbranch_execz .LBB159_16
; %bb.3:                                ;   in Loop: Header=BB159_2 Depth=1
	ds_read2_b64 v[18:21], v31 offset1:1
	ds_read2_b64 v[10:13], v31 offset0:2 offset1:3
	ds_read2_b64 v[14:17], v31 offset0:4 offset1:5
	;; [unrolled: 1-line block ×3, first 2 shown]
	v_cmp_ne_u32_e64 s[4:5], 0, v34
	s_waitcnt lgkmcnt(2)
	v_add_f64 v[0:1], v[20:21], v[12:13]
	v_add_f64 v[24:25], v[18:19], v[10:11]
	s_waitcnt lgkmcnt(1)
	v_add_f64 v[24:25], v[24:25], v[14:15]
	v_add_f64 v[0:1], v[0:1], v[16:17]
	;; [unrolled: 3-line block ×3, first 2 shown]
	s_nop 0
	v_mov_b32_dpp v28, v0 row_shr:1 row_mask:0xf bank_mask:0xf
	v_mov_b32_dpp v26, v24 row_shr:1 row_mask:0xf bank_mask:0xf
	v_mov_b32_dpp v27, v25 row_shr:1 row_mask:0xf bank_mask:0xf
	v_mov_b32_dpp v29, v1 row_shr:1 row_mask:0xf bank_mask:0xf
	s_and_saveexec_b64 s[14:15], s[4:5]
; %bb.4:                                ;   in Loop: Header=BB159_2 Depth=1
	v_add_f64 v[0:1], v[0:1], v[28:29]
	v_add_f64 v[24:25], v[24:25], v[26:27]
; %bb.5:                                ;   in Loop: Header=BB159_2 Depth=1
	s_or_b64 exec, exec, s[14:15]
	s_nop 0
	v_mov_b32_dpp v26, v24 row_shr:2 row_mask:0xf bank_mask:0xf
	v_mov_b32_dpp v27, v25 row_shr:2 row_mask:0xf bank_mask:0xf
	v_mov_b32_dpp v28, v0 row_shr:2 row_mask:0xf bank_mask:0xf
	v_mov_b32_dpp v29, v1 row_shr:2 row_mask:0xf bank_mask:0xf
	v_cmp_lt_u32_e64 s[4:5], 1, v34
	s_and_saveexec_b64 s[14:15], s[4:5]
; %bb.6:                                ;   in Loop: Header=BB159_2 Depth=1
	v_add_f64 v[0:1], v[0:1], v[28:29]
	v_add_f64 v[24:25], v[24:25], v[26:27]
; %bb.7:                                ;   in Loop: Header=BB159_2 Depth=1
	s_or_b64 exec, exec, s[14:15]
	s_nop 0
	v_mov_b32_dpp v26, v24 row_shr:4 row_mask:0xf bank_mask:0xf
	v_mov_b32_dpp v27, v25 row_shr:4 row_mask:0xf bank_mask:0xf
	v_mov_b32_dpp v28, v0 row_shr:4 row_mask:0xf bank_mask:0xf
	v_mov_b32_dpp v29, v1 row_shr:4 row_mask:0xf bank_mask:0xf
	v_cmp_lt_u32_e64 s[4:5], 3, v34
	s_and_saveexec_b64 s[14:15], s[4:5]
; %bb.8:                                ;   in Loop: Header=BB159_2 Depth=1
	v_add_f64 v[0:1], v[0:1], v[28:29]
	v_add_f64 v[24:25], v[24:25], v[26:27]
; %bb.9:                                ;   in Loop: Header=BB159_2 Depth=1
	s_or_b64 exec, exec, s[14:15]
	s_nop 0
	v_mov_b32_dpp v26, v24 row_shr:8 row_mask:0xf bank_mask:0xf
	v_mov_b32_dpp v27, v25 row_shr:8 row_mask:0xf bank_mask:0xf
	v_mov_b32_dpp v28, v0 row_shr:8 row_mask:0xf bank_mask:0xf
	v_mov_b32_dpp v29, v1 row_shr:8 row_mask:0xf bank_mask:0xf
	v_cmp_lt_u32_e64 s[4:5], 7, v34
	s_and_saveexec_b64 s[14:15], s[4:5]
; %bb.10:                               ;   in Loop: Header=BB159_2 Depth=1
	v_add_f64 v[0:1], v[0:1], v[28:29]
	v_add_f64 v[24:25], v[24:25], v[26:27]
; %bb.11:                               ;   in Loop: Header=BB159_2 Depth=1
	s_or_b64 exec, exec, s[14:15]
	v_and_b32_e32 v35, 16, v33
	v_mov_b32_dpp v26, v24 row_bcast:15 row_mask:0xf bank_mask:0xf
	v_mov_b32_dpp v27, v25 row_bcast:15 row_mask:0xf bank_mask:0xf
	;; [unrolled: 1-line block ×4, first 2 shown]
	v_cmp_ne_u32_e64 s[4:5], 0, v35
	s_and_saveexec_b64 s[14:15], s[4:5]
; %bb.12:                               ;   in Loop: Header=BB159_2 Depth=1
	v_add_f64 v[0:1], v[0:1], v[28:29]
	v_add_f64 v[24:25], v[24:25], v[26:27]
; %bb.13:                               ;   in Loop: Header=BB159_2 Depth=1
	s_or_b64 exec, exec, s[14:15]
	s_nop 0
	v_mov_b32_dpp v26, v24 row_bcast:31 row_mask:0xf bank_mask:0xf
	v_mov_b32_dpp v27, v25 row_bcast:31 row_mask:0xf bank_mask:0xf
	;; [unrolled: 1-line block ×4, first 2 shown]
	v_cmp_lt_u32_e64 s[4:5], 31, v33
	s_and_saveexec_b64 s[14:15], s[4:5]
; %bb.14:                               ;   in Loop: Header=BB159_2 Depth=1
	v_add_f64 v[0:1], v[0:1], v[28:29]
	v_add_f64 v[24:25], v[24:25], v[26:27]
; %bb.15:                               ;   in Loop: Header=BB159_2 Depth=1
	s_or_b64 exec, exec, s[14:15]
	v_add_u32_e32 v26, -1, v33
	v_and_b32_e32 v27, 64, v33
	v_cmp_lt_i32_e64 s[4:5], v26, v27
	s_nop 1
	v_cndmask_b32_e64 v26, v26, v33, s[4:5]
	v_lshlrev_b32_e32 v26, 2, v26
	ds_bpermute_b32 v24, v26, v24
	ds_bpermute_b32 v25, v26, v25
	;; [unrolled: 1-line block ×4, first 2 shown]
	s_waitcnt lgkmcnt(2)
	v_add_f64 v[18:19], v[18:19], v[24:25]
	v_cndmask_b32_e64 v3, v19, v3, s[0:1]
	s_waitcnt lgkmcnt(0)
	v_add_f64 v[0:1], v[20:21], v[0:1]
	v_cndmask_b32_e64 v1, v1, v5, s[0:1]
	v_cndmask_b32_e64 v0, v0, v4, s[0:1]
	;; [unrolled: 1-line block ×3, first 2 shown]
	ds_write2_b64 v31, v[2:3], v[0:1] offset1:1
	v_add_f64 v[2:3], v[10:11], v[2:3]
	v_add_f64 v[0:1], v[12:13], v[0:1]
	ds_write2_b64 v31, v[2:3], v[0:1] offset0:2 offset1:3
	v_add_f64 v[2:3], v[14:15], v[2:3]
	v_add_f64 v[0:1], v[16:17], v[0:1]
	ds_write2_b64 v31, v[2:3], v[0:1] offset0:4 offset1:5
	;; [unrolled: 3-line block ×3, first 2 shown]
.LBB159_16:                             ;   in Loop: Header=BB159_2 Depth=1
	s_or_b64 exec, exec, s[12:13]
	v_mov_b64_e32 v[4:5], s[10:11]
	v_mov_b64_e32 v[2:3], s[8:9]
	s_waitcnt lgkmcnt(0)
	s_barrier
	s_and_saveexec_b64 s[4:5], s[2:3]
	s_cbranch_execz .LBB159_1
; %bb.17:                               ;   in Loop: Header=BB159_2 Depth=1
	ds_read2_b64 v[2:5], v32 offset1:1
	s_waitcnt lgkmcnt(0)
	v_add_f64 v[2:3], s[8:9], v[2:3]
	v_add_f64 v[4:5], s[10:11], v[4:5]
	s_branch .LBB159_1
.LBB159_18:
	v_mov_b32_e32 v0, s6
	v_mov_b32_e32 v1, s7
	v_lshl_add_u64 v[0:1], v[22:23], 4, v[0:1]
	global_store_dwordx4 v[0:1], v[2:5], off
	s_endpgm
	.section	.rodata,"a",@progbits
	.p2align	6, 0x0
	.amdhsa_kernel _Z6kernelI14exclusive_scanILN6hipcub18BlockScanAlgorithmE1EEN15benchmark_utils11custom_typeIddEELj256ELj1ELj100EEvPKT0_PS7_S7_
		.amdhsa_group_segment_fixed_size 4224
		.amdhsa_private_segment_fixed_size 0
		.amdhsa_kernarg_size 288
		.amdhsa_user_sgpr_count 2
		.amdhsa_user_sgpr_dispatch_ptr 0
		.amdhsa_user_sgpr_queue_ptr 0
		.amdhsa_user_sgpr_kernarg_segment_ptr 1
		.amdhsa_user_sgpr_dispatch_id 0
		.amdhsa_user_sgpr_kernarg_preload_length 0
		.amdhsa_user_sgpr_kernarg_preload_offset 0
		.amdhsa_user_sgpr_private_segment_size 0
		.amdhsa_uses_dynamic_stack 0
		.amdhsa_enable_private_segment 0
		.amdhsa_system_sgpr_workgroup_id_x 1
		.amdhsa_system_sgpr_workgroup_id_y 0
		.amdhsa_system_sgpr_workgroup_id_z 0
		.amdhsa_system_sgpr_workgroup_info 0
		.amdhsa_system_vgpr_workitem_id 0
		.amdhsa_next_free_vgpr 36
		.amdhsa_next_free_sgpr 17
		.amdhsa_accum_offset 36
		.amdhsa_reserve_vcc 1
		.amdhsa_float_round_mode_32 0
		.amdhsa_float_round_mode_16_64 0
		.amdhsa_float_denorm_mode_32 3
		.amdhsa_float_denorm_mode_16_64 3
		.amdhsa_dx10_clamp 1
		.amdhsa_ieee_mode 1
		.amdhsa_fp16_overflow 0
		.amdhsa_tg_split 0
		.amdhsa_exception_fp_ieee_invalid_op 0
		.amdhsa_exception_fp_denorm_src 0
		.amdhsa_exception_fp_ieee_div_zero 0
		.amdhsa_exception_fp_ieee_overflow 0
		.amdhsa_exception_fp_ieee_underflow 0
		.amdhsa_exception_fp_ieee_inexact 0
		.amdhsa_exception_int_div_zero 0
	.end_amdhsa_kernel
	.section	.text._Z6kernelI14exclusive_scanILN6hipcub18BlockScanAlgorithmE1EEN15benchmark_utils11custom_typeIddEELj256ELj1ELj100EEvPKT0_PS7_S7_,"axG",@progbits,_Z6kernelI14exclusive_scanILN6hipcub18BlockScanAlgorithmE1EEN15benchmark_utils11custom_typeIddEELj256ELj1ELj100EEvPKT0_PS7_S7_,comdat
.Lfunc_end159:
	.size	_Z6kernelI14exclusive_scanILN6hipcub18BlockScanAlgorithmE1EEN15benchmark_utils11custom_typeIddEELj256ELj1ELj100EEvPKT0_PS7_S7_, .Lfunc_end159-_Z6kernelI14exclusive_scanILN6hipcub18BlockScanAlgorithmE1EEN15benchmark_utils11custom_typeIddEELj256ELj1ELj100EEvPKT0_PS7_S7_
                                        ; -- End function
	.section	.AMDGPU.csdata,"",@progbits
; Kernel info:
; codeLenInByte = 988
; NumSgprs: 23
; NumVgprs: 36
; NumAgprs: 0
; TotalNumVgprs: 36
; ScratchSize: 0
; MemoryBound: 0
; FloatMode: 240
; IeeeMode: 1
; LDSByteSize: 4224 bytes/workgroup (compile time only)
; SGPRBlocks: 2
; VGPRBlocks: 4
; NumSGPRsForWavesPerEU: 23
; NumVGPRsForWavesPerEU: 36
; AccumOffset: 36
; Occupancy: 8
; WaveLimiterHint : 0
; COMPUTE_PGM_RSRC2:SCRATCH_EN: 0
; COMPUTE_PGM_RSRC2:USER_SGPR: 2
; COMPUTE_PGM_RSRC2:TRAP_HANDLER: 0
; COMPUTE_PGM_RSRC2:TGID_X_EN: 1
; COMPUTE_PGM_RSRC2:TGID_Y_EN: 0
; COMPUTE_PGM_RSRC2:TGID_Z_EN: 0
; COMPUTE_PGM_RSRC2:TIDIG_COMP_CNT: 0
; COMPUTE_PGM_RSRC3_GFX90A:ACCUM_OFFSET: 8
; COMPUTE_PGM_RSRC3_GFX90A:TG_SPLIT: 0
	.section	.text._Z6kernelI14exclusive_scanILN6hipcub18BlockScanAlgorithmE1EEN15benchmark_utils11custom_typeIddEELj256ELj4ELj100EEvPKT0_PS7_S7_,"axG",@progbits,_Z6kernelI14exclusive_scanILN6hipcub18BlockScanAlgorithmE1EEN15benchmark_utils11custom_typeIddEELj256ELj4ELj100EEvPKT0_PS7_S7_,comdat
	.protected	_Z6kernelI14exclusive_scanILN6hipcub18BlockScanAlgorithmE1EEN15benchmark_utils11custom_typeIddEELj256ELj4ELj100EEvPKT0_PS7_S7_ ; -- Begin function _Z6kernelI14exclusive_scanILN6hipcub18BlockScanAlgorithmE1EEN15benchmark_utils11custom_typeIddEELj256ELj4ELj100EEvPKT0_PS7_S7_
	.globl	_Z6kernelI14exclusive_scanILN6hipcub18BlockScanAlgorithmE1EEN15benchmark_utils11custom_typeIddEELj256ELj4ELj100EEvPKT0_PS7_S7_
	.p2align	8
	.type	_Z6kernelI14exclusive_scanILN6hipcub18BlockScanAlgorithmE1EEN15benchmark_utils11custom_typeIddEELj256ELj4ELj100EEvPKT0_PS7_S7_,@function
_Z6kernelI14exclusive_scanILN6hipcub18BlockScanAlgorithmE1EEN15benchmark_utils11custom_typeIddEELj256ELj4ELj100EEvPKT0_PS7_S7_: ; @_Z6kernelI14exclusive_scanILN6hipcub18BlockScanAlgorithmE1EEN15benchmark_utils11custom_typeIddEELj256ELj4ELj100EEvPKT0_PS7_S7_
; %bb.0:
	s_load_dwordx8 s[4:11], s[0:1], 0x0
	s_load_dword s3, s[0:1], 0x2c
	v_mov_b32_e32 v31, 0
	v_lshrrev_b32_e32 v1, 5, v0
	v_add_lshl_u32 v42, v1, v0, 4
	s_waitcnt lgkmcnt(0)
	v_mov_b32_e32 v2, s4
	s_and_b32 s0, s3, 0xffff
	s_mul_i32 s2, s2, s0
	v_mov_b32_e32 v3, s5
	v_add_lshl_u32 v30, s2, v0, 2
	v_lshl_add_u64 v[18:19], v[30:31], 4, v[2:3]
	global_load_dwordx4 v[14:17], v[18:19], off offset:48
	global_load_dwordx4 v[2:5], v[18:19], off offset:32
	;; [unrolled: 1-line block ×3, first 2 shown]
	global_load_dwordx4 v[10:13], v[18:19], off
	v_cmp_gt_u32_e32 vcc, 64, v0
	v_cmp_eq_u32_e64 s[0:1], 0, v0
	v_cmp_ne_u32_e64 s[2:3], 0, v0
	v_lshlrev_b32_e32 v1, 2, v0
	v_lshrrev_b32_e32 v18, 3, v0
	v_add_u32_e32 v0, -1, v0
	v_add_lshl_u32 v43, v18, v1, 4
	v_lshrrev_b32_e32 v1, 5, v0
	v_add_lshl_u32 v44, v1, v0, 4
	v_mbcnt_lo_u32_b32 v0, -1, 0
	s_movk_i32 s16, 0x64
	v_mbcnt_hi_u32_b32 v45, -1, v0
.LBB160_1:                              ; =>This Inner Loop Header: Depth=1
	s_waitcnt vmcnt(0)
	v_add_f64 v[0:1], v[6:7], v[10:11]
	v_add_f64 v[18:19], v[8:9], v[12:13]
	;; [unrolled: 1-line block ×6, first 2 shown]
	ds_write2_b64 v42, v[0:1], v[32:33] offset1:1
	s_waitcnt lgkmcnt(0)
	s_barrier
	s_and_saveexec_b64 s[12:13], vcc
	s_cbranch_execz .LBB160_15
; %bb.2:                                ;   in Loop: Header=BB160_1 Depth=1
	ds_read2_b64 v[26:29], v43 offset1:1
	ds_read2_b64 v[18:21], v43 offset0:2 offset1:3
	ds_read2_b64 v[22:25], v43 offset0:4 offset1:5
	;; [unrolled: 1-line block ×3, first 2 shown]
	v_and_b32_e32 v46, 15, v45
	v_cmp_ne_u32_e64 s[4:5], 0, v46
	s_waitcnt lgkmcnt(2)
	v_add_f64 v[34:35], v[28:29], v[20:21]
	v_add_f64 v[36:37], v[26:27], v[18:19]
	s_waitcnt lgkmcnt(1)
	v_add_f64 v[36:37], v[36:37], v[22:23]
	v_add_f64 v[34:35], v[34:35], v[24:25]
	;; [unrolled: 3-line block ×3, first 2 shown]
	s_nop 0
	v_mov_b32_dpp v40, v34 row_shr:1 row_mask:0xf bank_mask:0xf
	v_mov_b32_dpp v38, v36 row_shr:1 row_mask:0xf bank_mask:0xf
	;; [unrolled: 1-line block ×4, first 2 shown]
	s_and_saveexec_b64 s[14:15], s[4:5]
; %bb.3:                                ;   in Loop: Header=BB160_1 Depth=1
	v_add_f64 v[34:35], v[34:35], v[40:41]
	v_add_f64 v[36:37], v[36:37], v[38:39]
; %bb.4:                                ;   in Loop: Header=BB160_1 Depth=1
	s_or_b64 exec, exec, s[14:15]
	s_nop 0
	v_mov_b32_dpp v38, v36 row_shr:2 row_mask:0xf bank_mask:0xf
	v_mov_b32_dpp v39, v37 row_shr:2 row_mask:0xf bank_mask:0xf
	v_mov_b32_dpp v40, v34 row_shr:2 row_mask:0xf bank_mask:0xf
	v_mov_b32_dpp v41, v35 row_shr:2 row_mask:0xf bank_mask:0xf
	v_cmp_lt_u32_e64 s[4:5], 1, v46
	s_and_saveexec_b64 s[14:15], s[4:5]
; %bb.5:                                ;   in Loop: Header=BB160_1 Depth=1
	v_add_f64 v[34:35], v[34:35], v[40:41]
	v_add_f64 v[36:37], v[36:37], v[38:39]
; %bb.6:                                ;   in Loop: Header=BB160_1 Depth=1
	s_or_b64 exec, exec, s[14:15]
	s_nop 0
	v_mov_b32_dpp v38, v36 row_shr:4 row_mask:0xf bank_mask:0xf
	v_mov_b32_dpp v39, v37 row_shr:4 row_mask:0xf bank_mask:0xf
	v_mov_b32_dpp v40, v34 row_shr:4 row_mask:0xf bank_mask:0xf
	v_mov_b32_dpp v41, v35 row_shr:4 row_mask:0xf bank_mask:0xf
	v_cmp_lt_u32_e64 s[4:5], 3, v46
	;; [unrolled: 12-line block ×3, first 2 shown]
	s_and_saveexec_b64 s[14:15], s[4:5]
; %bb.9:                                ;   in Loop: Header=BB160_1 Depth=1
	v_add_f64 v[34:35], v[34:35], v[40:41]
	v_add_f64 v[36:37], v[36:37], v[38:39]
; %bb.10:                               ;   in Loop: Header=BB160_1 Depth=1
	s_or_b64 exec, exec, s[14:15]
	v_and_b32_e32 v46, 16, v45
	v_mov_b32_dpp v38, v36 row_bcast:15 row_mask:0xf bank_mask:0xf
	v_mov_b32_dpp v39, v37 row_bcast:15 row_mask:0xf bank_mask:0xf
	;; [unrolled: 1-line block ×4, first 2 shown]
	v_cmp_ne_u32_e64 s[4:5], 0, v46
	s_and_saveexec_b64 s[14:15], s[4:5]
; %bb.11:                               ;   in Loop: Header=BB160_1 Depth=1
	v_add_f64 v[34:35], v[34:35], v[40:41]
	v_add_f64 v[36:37], v[36:37], v[38:39]
; %bb.12:                               ;   in Loop: Header=BB160_1 Depth=1
	s_or_b64 exec, exec, s[14:15]
	s_nop 0
	v_mov_b32_dpp v38, v36 row_bcast:31 row_mask:0xf bank_mask:0xf
	v_mov_b32_dpp v39, v37 row_bcast:31 row_mask:0xf bank_mask:0xf
	;; [unrolled: 1-line block ×4, first 2 shown]
	v_cmp_lt_u32_e64 s[4:5], 31, v45
	s_and_saveexec_b64 s[14:15], s[4:5]
; %bb.13:                               ;   in Loop: Header=BB160_1 Depth=1
	v_add_f64 v[34:35], v[34:35], v[40:41]
	v_add_f64 v[36:37], v[36:37], v[38:39]
; %bb.14:                               ;   in Loop: Header=BB160_1 Depth=1
	s_or_b64 exec, exec, s[14:15]
	v_add_u32_e32 v38, -1, v45
	v_and_b32_e32 v39, 64, v45
	v_cmp_lt_i32_e64 s[4:5], v38, v39
	s_nop 1
	v_cndmask_b32_e64 v38, v38, v45, s[4:5]
	v_lshlrev_b32_e32 v38, 2, v38
	ds_bpermute_b32 v36, v38, v36
	ds_bpermute_b32 v37, v38, v37
	;; [unrolled: 1-line block ×4, first 2 shown]
	s_waitcnt lgkmcnt(2)
	v_add_f64 v[26:27], v[26:27], v[36:37]
	v_cndmask_b32_e64 v1, v27, v1, s[0:1]
	s_waitcnt lgkmcnt(0)
	v_add_f64 v[28:29], v[28:29], v[34:35]
	v_cndmask_b32_e64 v29, v29, v33, s[0:1]
	v_cndmask_b32_e64 v28, v28, v32, s[0:1]
	;; [unrolled: 1-line block ×3, first 2 shown]
	ds_write2_b64 v43, v[0:1], v[28:29] offset1:1
	v_add_f64 v[0:1], v[18:19], v[0:1]
	v_add_f64 v[18:19], v[20:21], v[28:29]
	ds_write2_b64 v43, v[0:1], v[18:19] offset0:2 offset1:3
	v_add_f64 v[0:1], v[22:23], v[0:1]
	v_add_f64 v[18:19], v[24:25], v[18:19]
	ds_write2_b64 v43, v[0:1], v[18:19] offset0:4 offset1:5
	;; [unrolled: 3-line block ×3, first 2 shown]
.LBB160_15:                             ;   in Loop: Header=BB160_1 Depth=1
	s_or_b64 exec, exec, s[12:13]
	v_mov_b64_e32 v[18:19], s[8:9]
	v_mov_b64_e32 v[20:21], s[10:11]
	s_waitcnt lgkmcnt(0)
	s_barrier
	s_and_saveexec_b64 s[4:5], s[2:3]
	s_cbranch_execz .LBB160_17
; %bb.16:                               ;   in Loop: Header=BB160_1 Depth=1
	ds_read2_b64 v[14:17], v44 offset1:1
	s_waitcnt lgkmcnt(0)
	v_add_f64 v[18:19], s[8:9], v[14:15]
	v_add_f64 v[20:21], s[10:11], v[16:17]
.LBB160_17:                             ;   in Loop: Header=BB160_1 Depth=1
	s_or_b64 exec, exec, s[4:5]
	v_add_f64 v[10:11], v[10:11], v[18:19]
	v_add_f64 v[12:13], v[12:13], v[20:21]
	;; [unrolled: 1-line block ×4, first 2 shown]
	s_add_i32 s16, s16, -1
	v_add_f64 v[14:15], v[2:3], v[6:7]
	s_cmp_lg_u32 s16, 0
	v_add_f64 v[16:17], v[4:5], v[8:9]
	s_cbranch_scc0 .LBB160_19
; %bb.18:                               ;   in Loop: Header=BB160_1 Depth=1
	v_mov_b64_e32 v[4:5], v[8:9]
	v_mov_b64_e32 v[2:3], v[6:7]
	;; [unrolled: 1-line block ×6, first 2 shown]
	s_branch .LBB160_1
.LBB160_19:
	v_mov_b32_e32 v0, s6
	v_mov_b32_e32 v1, s7
	v_lshl_add_u64 v[0:1], v[30:31], 4, v[0:1]
	global_store_dwordx4 v[0:1], v[18:21], off
	global_store_dwordx4 v[0:1], v[10:13], off offset:16
	global_store_dwordx4 v[0:1], v[6:9], off offset:32
	;; [unrolled: 1-line block ×3, first 2 shown]
	s_endpgm
	.section	.rodata,"a",@progbits
	.p2align	6, 0x0
	.amdhsa_kernel _Z6kernelI14exclusive_scanILN6hipcub18BlockScanAlgorithmE1EEN15benchmark_utils11custom_typeIddEELj256ELj4ELj100EEvPKT0_PS7_S7_
		.amdhsa_group_segment_fixed_size 4224
		.amdhsa_private_segment_fixed_size 0
		.amdhsa_kernarg_size 288
		.amdhsa_user_sgpr_count 2
		.amdhsa_user_sgpr_dispatch_ptr 0
		.amdhsa_user_sgpr_queue_ptr 0
		.amdhsa_user_sgpr_kernarg_segment_ptr 1
		.amdhsa_user_sgpr_dispatch_id 0
		.amdhsa_user_sgpr_kernarg_preload_length 0
		.amdhsa_user_sgpr_kernarg_preload_offset 0
		.amdhsa_user_sgpr_private_segment_size 0
		.amdhsa_uses_dynamic_stack 0
		.amdhsa_enable_private_segment 0
		.amdhsa_system_sgpr_workgroup_id_x 1
		.amdhsa_system_sgpr_workgroup_id_y 0
		.amdhsa_system_sgpr_workgroup_id_z 0
		.amdhsa_system_sgpr_workgroup_info 0
		.amdhsa_system_vgpr_workitem_id 0
		.amdhsa_next_free_vgpr 47
		.amdhsa_next_free_sgpr 17
		.amdhsa_accum_offset 48
		.amdhsa_reserve_vcc 1
		.amdhsa_float_round_mode_32 0
		.amdhsa_float_round_mode_16_64 0
		.amdhsa_float_denorm_mode_32 3
		.amdhsa_float_denorm_mode_16_64 3
		.amdhsa_dx10_clamp 1
		.amdhsa_ieee_mode 1
		.amdhsa_fp16_overflow 0
		.amdhsa_tg_split 0
		.amdhsa_exception_fp_ieee_invalid_op 0
		.amdhsa_exception_fp_denorm_src 0
		.amdhsa_exception_fp_ieee_div_zero 0
		.amdhsa_exception_fp_ieee_overflow 0
		.amdhsa_exception_fp_ieee_underflow 0
		.amdhsa_exception_fp_ieee_inexact 0
		.amdhsa_exception_int_div_zero 0
	.end_amdhsa_kernel
	.section	.text._Z6kernelI14exclusive_scanILN6hipcub18BlockScanAlgorithmE1EEN15benchmark_utils11custom_typeIddEELj256ELj4ELj100EEvPKT0_PS7_S7_,"axG",@progbits,_Z6kernelI14exclusive_scanILN6hipcub18BlockScanAlgorithmE1EEN15benchmark_utils11custom_typeIddEELj256ELj4ELj100EEvPKT0_PS7_S7_,comdat
.Lfunc_end160:
	.size	_Z6kernelI14exclusive_scanILN6hipcub18BlockScanAlgorithmE1EEN15benchmark_utils11custom_typeIddEELj256ELj4ELj100EEvPKT0_PS7_S7_, .Lfunc_end160-_Z6kernelI14exclusive_scanILN6hipcub18BlockScanAlgorithmE1EEN15benchmark_utils11custom_typeIddEELj256ELj4ELj100EEvPKT0_PS7_S7_
                                        ; -- End function
	.section	.AMDGPU.csdata,"",@progbits
; Kernel info:
; codeLenInByte = 1156
; NumSgprs: 23
; NumVgprs: 47
; NumAgprs: 0
; TotalNumVgprs: 47
; ScratchSize: 0
; MemoryBound: 0
; FloatMode: 240
; IeeeMode: 1
; LDSByteSize: 4224 bytes/workgroup (compile time only)
; SGPRBlocks: 2
; VGPRBlocks: 5
; NumSGPRsForWavesPerEU: 23
; NumVGPRsForWavesPerEU: 47
; AccumOffset: 48
; Occupancy: 8
; WaveLimiterHint : 0
; COMPUTE_PGM_RSRC2:SCRATCH_EN: 0
; COMPUTE_PGM_RSRC2:USER_SGPR: 2
; COMPUTE_PGM_RSRC2:TRAP_HANDLER: 0
; COMPUTE_PGM_RSRC2:TGID_X_EN: 1
; COMPUTE_PGM_RSRC2:TGID_Y_EN: 0
; COMPUTE_PGM_RSRC2:TGID_Z_EN: 0
; COMPUTE_PGM_RSRC2:TIDIG_COMP_CNT: 0
; COMPUTE_PGM_RSRC3_GFX90A:ACCUM_OFFSET: 11
; COMPUTE_PGM_RSRC3_GFX90A:TG_SPLIT: 0
	.section	.text._Z6kernelI14exclusive_scanILN6hipcub18BlockScanAlgorithmE1EEN15benchmark_utils11custom_typeIddEELj256ELj8ELj100EEvPKT0_PS7_S7_,"axG",@progbits,_Z6kernelI14exclusive_scanILN6hipcub18BlockScanAlgorithmE1EEN15benchmark_utils11custom_typeIddEELj256ELj8ELj100EEvPKT0_PS7_S7_,comdat
	.protected	_Z6kernelI14exclusive_scanILN6hipcub18BlockScanAlgorithmE1EEN15benchmark_utils11custom_typeIddEELj256ELj8ELj100EEvPKT0_PS7_S7_ ; -- Begin function _Z6kernelI14exclusive_scanILN6hipcub18BlockScanAlgorithmE1EEN15benchmark_utils11custom_typeIddEELj256ELj8ELj100EEvPKT0_PS7_S7_
	.globl	_Z6kernelI14exclusive_scanILN6hipcub18BlockScanAlgorithmE1EEN15benchmark_utils11custom_typeIddEELj256ELj8ELj100EEvPKT0_PS7_S7_
	.p2align	8
	.type	_Z6kernelI14exclusive_scanILN6hipcub18BlockScanAlgorithmE1EEN15benchmark_utils11custom_typeIddEELj256ELj8ELj100EEvPKT0_PS7_S7_,@function
_Z6kernelI14exclusive_scanILN6hipcub18BlockScanAlgorithmE1EEN15benchmark_utils11custom_typeIddEELj256ELj8ELj100EEvPKT0_PS7_S7_: ; @_Z6kernelI14exclusive_scanILN6hipcub18BlockScanAlgorithmE1EEN15benchmark_utils11custom_typeIddEELj256ELj8ELj100EEvPKT0_PS7_S7_
; %bb.0:
	s_load_dwordx8 s[4:11], s[0:1], 0x0
	s_load_dword s3, s[0:1], 0x2c
	v_mov_b32_e32 v47, 0
	v_lshrrev_b32_e32 v1, 5, v0
	v_add_lshl_u32 v58, v1, v0, 4
	s_waitcnt lgkmcnt(0)
	v_mov_b32_e32 v2, s4
	s_and_b32 s0, s3, 0xffff
	s_mul_i32 s2, s2, s0
	v_mov_b32_e32 v3, s5
	v_add_lshl_u32 v46, s2, v0, 3
	v_lshl_add_u64 v[34:35], v[46:47], 4, v[2:3]
	global_load_dwordx4 v[2:5], v[34:35], off offset:48
	global_load_dwordx4 v[6:9], v[34:35], off offset:32
	;; [unrolled: 1-line block ×3, first 2 shown]
	global_load_dwordx4 v[14:17], v[34:35], off
	global_load_dwordx4 v[30:33], v[34:35], off offset:112
	global_load_dwordx4 v[18:21], v[34:35], off offset:96
	;; [unrolled: 1-line block ×4, first 2 shown]
	v_cmp_gt_u32_e32 vcc, 64, v0
	v_cmp_eq_u32_e64 s[0:1], 0, v0
	v_cmp_ne_u32_e64 s[2:3], 0, v0
	v_lshlrev_b32_e32 v1, 2, v0
	v_lshrrev_b32_e32 v34, 3, v0
	v_add_u32_e32 v0, -1, v0
	v_add_lshl_u32 v59, v34, v1, 4
	v_lshrrev_b32_e32 v1, 5, v0
	v_add_lshl_u32 v60, v1, v0, 4
	v_mbcnt_lo_u32_b32 v0, -1, 0
	s_movk_i32 s16, 0x64
	v_mbcnt_hi_u32_b32 v61, -1, v0
.LBB161_1:                              ; =>This Inner Loop Header: Depth=1
	s_waitcnt vmcnt(4)
	v_add_f64 v[0:1], v[10:11], v[14:15]
	v_add_f64 v[34:35], v[12:13], v[16:17]
	;; [unrolled: 1-line block ×6, first 2 shown]
	s_waitcnt vmcnt(0)
	v_add_f64 v[0:1], v[26:27], v[0:1]
	v_add_f64 v[34:35], v[28:29], v[34:35]
	;; [unrolled: 1-line block ×8, first 2 shown]
	ds_write2_b64 v58, v[0:1], v[48:49] offset1:1
	s_waitcnt lgkmcnt(0)
	s_barrier
	s_and_saveexec_b64 s[12:13], vcc
	s_cbranch_execz .LBB161_15
; %bb.2:                                ;   in Loop: Header=BB161_1 Depth=1
	ds_read2_b64 v[42:45], v59 offset1:1
	ds_read2_b64 v[34:37], v59 offset0:2 offset1:3
	ds_read2_b64 v[38:41], v59 offset0:4 offset1:5
	;; [unrolled: 1-line block ×3, first 2 shown]
	v_and_b32_e32 v62, 15, v61
	v_cmp_ne_u32_e64 s[4:5], 0, v62
	s_waitcnt lgkmcnt(2)
	v_add_f64 v[50:51], v[44:45], v[36:37]
	v_add_f64 v[52:53], v[42:43], v[34:35]
	s_waitcnt lgkmcnt(1)
	v_add_f64 v[52:53], v[52:53], v[38:39]
	v_add_f64 v[50:51], v[50:51], v[40:41]
	;; [unrolled: 3-line block ×3, first 2 shown]
	s_nop 0
	v_mov_b32_dpp v56, v50 row_shr:1 row_mask:0xf bank_mask:0xf
	v_mov_b32_dpp v54, v52 row_shr:1 row_mask:0xf bank_mask:0xf
	;; [unrolled: 1-line block ×4, first 2 shown]
	s_and_saveexec_b64 s[14:15], s[4:5]
; %bb.3:                                ;   in Loop: Header=BB161_1 Depth=1
	v_add_f64 v[50:51], v[50:51], v[56:57]
	v_add_f64 v[52:53], v[52:53], v[54:55]
; %bb.4:                                ;   in Loop: Header=BB161_1 Depth=1
	s_or_b64 exec, exec, s[14:15]
	s_nop 0
	v_mov_b32_dpp v54, v52 row_shr:2 row_mask:0xf bank_mask:0xf
	v_mov_b32_dpp v55, v53 row_shr:2 row_mask:0xf bank_mask:0xf
	v_mov_b32_dpp v56, v50 row_shr:2 row_mask:0xf bank_mask:0xf
	v_mov_b32_dpp v57, v51 row_shr:2 row_mask:0xf bank_mask:0xf
	v_cmp_lt_u32_e64 s[4:5], 1, v62
	s_and_saveexec_b64 s[14:15], s[4:5]
; %bb.5:                                ;   in Loop: Header=BB161_1 Depth=1
	v_add_f64 v[50:51], v[50:51], v[56:57]
	v_add_f64 v[52:53], v[52:53], v[54:55]
; %bb.6:                                ;   in Loop: Header=BB161_1 Depth=1
	s_or_b64 exec, exec, s[14:15]
	s_nop 0
	v_mov_b32_dpp v54, v52 row_shr:4 row_mask:0xf bank_mask:0xf
	v_mov_b32_dpp v55, v53 row_shr:4 row_mask:0xf bank_mask:0xf
	v_mov_b32_dpp v56, v50 row_shr:4 row_mask:0xf bank_mask:0xf
	v_mov_b32_dpp v57, v51 row_shr:4 row_mask:0xf bank_mask:0xf
	v_cmp_lt_u32_e64 s[4:5], 3, v62
	;; [unrolled: 12-line block ×3, first 2 shown]
	s_and_saveexec_b64 s[14:15], s[4:5]
; %bb.9:                                ;   in Loop: Header=BB161_1 Depth=1
	v_add_f64 v[50:51], v[50:51], v[56:57]
	v_add_f64 v[52:53], v[52:53], v[54:55]
; %bb.10:                               ;   in Loop: Header=BB161_1 Depth=1
	s_or_b64 exec, exec, s[14:15]
	v_and_b32_e32 v62, 16, v61
	v_mov_b32_dpp v54, v52 row_bcast:15 row_mask:0xf bank_mask:0xf
	v_mov_b32_dpp v55, v53 row_bcast:15 row_mask:0xf bank_mask:0xf
	;; [unrolled: 1-line block ×4, first 2 shown]
	v_cmp_ne_u32_e64 s[4:5], 0, v62
	s_and_saveexec_b64 s[14:15], s[4:5]
; %bb.11:                               ;   in Loop: Header=BB161_1 Depth=1
	v_add_f64 v[50:51], v[50:51], v[56:57]
	v_add_f64 v[52:53], v[52:53], v[54:55]
; %bb.12:                               ;   in Loop: Header=BB161_1 Depth=1
	s_or_b64 exec, exec, s[14:15]
	s_nop 0
	v_mov_b32_dpp v54, v52 row_bcast:31 row_mask:0xf bank_mask:0xf
	v_mov_b32_dpp v55, v53 row_bcast:31 row_mask:0xf bank_mask:0xf
	;; [unrolled: 1-line block ×4, first 2 shown]
	v_cmp_lt_u32_e64 s[4:5], 31, v61
	s_and_saveexec_b64 s[14:15], s[4:5]
; %bb.13:                               ;   in Loop: Header=BB161_1 Depth=1
	v_add_f64 v[50:51], v[50:51], v[56:57]
	v_add_f64 v[52:53], v[52:53], v[54:55]
; %bb.14:                               ;   in Loop: Header=BB161_1 Depth=1
	s_or_b64 exec, exec, s[14:15]
	v_add_u32_e32 v54, -1, v61
	v_and_b32_e32 v55, 64, v61
	v_cmp_lt_i32_e64 s[4:5], v54, v55
	s_nop 1
	v_cndmask_b32_e64 v54, v54, v61, s[4:5]
	v_lshlrev_b32_e32 v54, 2, v54
	ds_bpermute_b32 v52, v54, v52
	ds_bpermute_b32 v53, v54, v53
	;; [unrolled: 1-line block ×4, first 2 shown]
	s_waitcnt lgkmcnt(2)
	v_add_f64 v[42:43], v[42:43], v[52:53]
	v_cndmask_b32_e64 v1, v43, v1, s[0:1]
	s_waitcnt lgkmcnt(0)
	v_add_f64 v[44:45], v[44:45], v[50:51]
	v_cndmask_b32_e64 v45, v45, v49, s[0:1]
	v_cndmask_b32_e64 v44, v44, v48, s[0:1]
	;; [unrolled: 1-line block ×3, first 2 shown]
	ds_write2_b64 v59, v[0:1], v[44:45] offset1:1
	v_add_f64 v[0:1], v[34:35], v[0:1]
	v_add_f64 v[34:35], v[36:37], v[44:45]
	ds_write2_b64 v59, v[0:1], v[34:35] offset0:2 offset1:3
	v_add_f64 v[0:1], v[38:39], v[0:1]
	v_add_f64 v[34:35], v[40:41], v[34:35]
	ds_write2_b64 v59, v[0:1], v[34:35] offset0:4 offset1:5
	v_add_f64 v[0:1], v[30:31], v[0:1]
	v_add_f64 v[30:31], v[32:33], v[34:35]
	ds_write2_b64 v59, v[0:1], v[30:31] offset0:6 offset1:7
.LBB161_15:                             ;   in Loop: Header=BB161_1 Depth=1
	s_or_b64 exec, exec, s[12:13]
	v_mov_b64_e32 v[34:35], s[8:9]
	v_mov_b64_e32 v[36:37], s[10:11]
	s_waitcnt lgkmcnt(0)
	s_barrier
	s_and_saveexec_b64 s[4:5], s[2:3]
	s_cbranch_execz .LBB161_17
; %bb.16:                               ;   in Loop: Header=BB161_1 Depth=1
	ds_read2_b64 v[30:33], v60 offset1:1
	s_waitcnt lgkmcnt(0)
	v_add_f64 v[34:35], s[8:9], v[30:31]
	v_add_f64 v[36:37], s[10:11], v[32:33]
.LBB161_17:                             ;   in Loop: Header=BB161_1 Depth=1
	s_or_b64 exec, exec, s[4:5]
	v_add_f64 v[42:43], v[14:15], v[34:35]
	v_add_f64 v[44:45], v[16:17], v[36:37]
	;; [unrolled: 1-line block ×12, first 2 shown]
	s_add_i32 s16, s16, -1
	v_add_f64 v[30:31], v[18:19], v[0:1]
	s_cmp_lg_u32 s16, 0
	v_add_f64 v[32:33], v[20:21], v[2:3]
	s_cbranch_scc0 .LBB161_19
; %bb.18:                               ;   in Loop: Header=BB161_1 Depth=1
	v_mov_b64_e32 v[20:21], v[2:3]
	v_mov_b64_e32 v[18:19], v[0:1]
	;; [unrolled: 1-line block ×14, first 2 shown]
	s_branch .LBB161_1
.LBB161_19:
	v_mov_b32_e32 v16, s6
	v_mov_b32_e32 v17, s7
	v_lshl_add_u64 v[16:17], v[46:47], 4, v[16:17]
	global_store_dwordx4 v[16:17], v[34:37], off
	global_store_dwordx4 v[16:17], v[42:45], off offset:16
	global_store_dwordx4 v[16:17], v[38:41], off offset:32
	global_store_dwordx4 v[16:17], v[12:15], off offset:48
	global_store_dwordx4 v[16:17], v[8:11], off offset:64
	global_store_dwordx4 v[16:17], v[4:7], off offset:80
	global_store_dwordx4 v[16:17], v[0:3], off offset:96
	global_store_dwordx4 v[16:17], v[30:33], off offset:112
	s_endpgm
	.section	.rodata,"a",@progbits
	.p2align	6, 0x0
	.amdhsa_kernel _Z6kernelI14exclusive_scanILN6hipcub18BlockScanAlgorithmE1EEN15benchmark_utils11custom_typeIddEELj256ELj8ELj100EEvPKT0_PS7_S7_
		.amdhsa_group_segment_fixed_size 4224
		.amdhsa_private_segment_fixed_size 0
		.amdhsa_kernarg_size 288
		.amdhsa_user_sgpr_count 2
		.amdhsa_user_sgpr_dispatch_ptr 0
		.amdhsa_user_sgpr_queue_ptr 0
		.amdhsa_user_sgpr_kernarg_segment_ptr 1
		.amdhsa_user_sgpr_dispatch_id 0
		.amdhsa_user_sgpr_kernarg_preload_length 0
		.amdhsa_user_sgpr_kernarg_preload_offset 0
		.amdhsa_user_sgpr_private_segment_size 0
		.amdhsa_uses_dynamic_stack 0
		.amdhsa_enable_private_segment 0
		.amdhsa_system_sgpr_workgroup_id_x 1
		.amdhsa_system_sgpr_workgroup_id_y 0
		.amdhsa_system_sgpr_workgroup_id_z 0
		.amdhsa_system_sgpr_workgroup_info 0
		.amdhsa_system_vgpr_workitem_id 0
		.amdhsa_next_free_vgpr 63
		.amdhsa_next_free_sgpr 17
		.amdhsa_accum_offset 64
		.amdhsa_reserve_vcc 1
		.amdhsa_float_round_mode_32 0
		.amdhsa_float_round_mode_16_64 0
		.amdhsa_float_denorm_mode_32 3
		.amdhsa_float_denorm_mode_16_64 3
		.amdhsa_dx10_clamp 1
		.amdhsa_ieee_mode 1
		.amdhsa_fp16_overflow 0
		.amdhsa_tg_split 0
		.amdhsa_exception_fp_ieee_invalid_op 0
		.amdhsa_exception_fp_denorm_src 0
		.amdhsa_exception_fp_ieee_div_zero 0
		.amdhsa_exception_fp_ieee_overflow 0
		.amdhsa_exception_fp_ieee_underflow 0
		.amdhsa_exception_fp_ieee_inexact 0
		.amdhsa_exception_int_div_zero 0
	.end_amdhsa_kernel
	.section	.text._Z6kernelI14exclusive_scanILN6hipcub18BlockScanAlgorithmE1EEN15benchmark_utils11custom_typeIddEELj256ELj8ELj100EEvPKT0_PS7_S7_,"axG",@progbits,_Z6kernelI14exclusive_scanILN6hipcub18BlockScanAlgorithmE1EEN15benchmark_utils11custom_typeIddEELj256ELj8ELj100EEvPKT0_PS7_S7_,comdat
.Lfunc_end161:
	.size	_Z6kernelI14exclusive_scanILN6hipcub18BlockScanAlgorithmE1EEN15benchmark_utils11custom_typeIddEELj256ELj8ELj100EEvPKT0_PS7_S7_, .Lfunc_end161-_Z6kernelI14exclusive_scanILN6hipcub18BlockScanAlgorithmE1EEN15benchmark_utils11custom_typeIddEELj256ELj8ELj100EEvPKT0_PS7_S7_
                                        ; -- End function
	.section	.AMDGPU.csdata,"",@progbits
; Kernel info:
; codeLenInByte = 1384
; NumSgprs: 23
; NumVgprs: 63
; NumAgprs: 0
; TotalNumVgprs: 63
; ScratchSize: 0
; MemoryBound: 1
; FloatMode: 240
; IeeeMode: 1
; LDSByteSize: 4224 bytes/workgroup (compile time only)
; SGPRBlocks: 2
; VGPRBlocks: 7
; NumSGPRsForWavesPerEU: 23
; NumVGPRsForWavesPerEU: 63
; AccumOffset: 64
; Occupancy: 8
; WaveLimiterHint : 0
; COMPUTE_PGM_RSRC2:SCRATCH_EN: 0
; COMPUTE_PGM_RSRC2:USER_SGPR: 2
; COMPUTE_PGM_RSRC2:TRAP_HANDLER: 0
; COMPUTE_PGM_RSRC2:TGID_X_EN: 1
; COMPUTE_PGM_RSRC2:TGID_Y_EN: 0
; COMPUTE_PGM_RSRC2:TGID_Z_EN: 0
; COMPUTE_PGM_RSRC2:TIDIG_COMP_CNT: 0
; COMPUTE_PGM_RSRC3_GFX90A:ACCUM_OFFSET: 15
; COMPUTE_PGM_RSRC3_GFX90A:TG_SPLIT: 0
	.section	.text._Z6kernelI14exclusive_scanILN6hipcub18BlockScanAlgorithmE0EEiLj64ELj1ELj100EEvPKT0_PS4_S4_,"axG",@progbits,_Z6kernelI14exclusive_scanILN6hipcub18BlockScanAlgorithmE0EEiLj64ELj1ELj100EEvPKT0_PS4_S4_,comdat
	.protected	_Z6kernelI14exclusive_scanILN6hipcub18BlockScanAlgorithmE0EEiLj64ELj1ELj100EEvPKT0_PS4_S4_ ; -- Begin function _Z6kernelI14exclusive_scanILN6hipcub18BlockScanAlgorithmE0EEiLj64ELj1ELj100EEvPKT0_PS4_S4_
	.globl	_Z6kernelI14exclusive_scanILN6hipcub18BlockScanAlgorithmE0EEiLj64ELj1ELj100EEvPKT0_PS4_S4_
	.p2align	8
	.type	_Z6kernelI14exclusive_scanILN6hipcub18BlockScanAlgorithmE0EEiLj64ELj1ELj100EEvPKT0_PS4_S4_,@function
_Z6kernelI14exclusive_scanILN6hipcub18BlockScanAlgorithmE0EEiLj64ELj1ELj100EEvPKT0_PS4_S4_: ; @_Z6kernelI14exclusive_scanILN6hipcub18BlockScanAlgorithmE0EEiLj64ELj1ELj100EEvPKT0_PS4_S4_
; %bb.0:
	s_load_dwordx4 s[12:15], s[0:1], 0x0
	s_load_dword s3, s[0:1], 0x24
	s_load_dword s18, s[0:1], 0x10
	v_mov_b32_e32 v3, 0
	v_mbcnt_lo_u32_b32 v1, -1, 0
	s_waitcnt lgkmcnt(0)
	v_mov_b32_e32 v4, s12
	s_and_b32 s0, s3, 0xffff
	s_mul_i32 s2, s2, s0
	v_mov_b32_e32 v5, s13
	v_add_u32_e32 v2, s2, v0
	v_lshl_add_u64 v[4:5], v[2:3], 2, v[4:5]
	global_load_dword v4, v[4:5], off
	v_mbcnt_hi_u32_b32 v1, -1, v1
	v_and_b32_e32 v5, 15, v1
	v_cmp_eq_u32_e32 vcc, 0, v5
	v_cmp_lt_u32_e64 s[0:1], 1, v5
	v_cmp_lt_u32_e64 s[2:3], 3, v5
	;; [unrolled: 1-line block ×3, first 2 shown]
	v_and_b32_e32 v5, 16, v1
	v_cmp_eq_u32_e64 s[6:7], 0, v5
	v_cmp_eq_u32_e64 s[10:11], 63, v0
	v_add_u32_e32 v0, -1, v1
	v_and_b32_e32 v5, 64, v1
	v_cmp_lt_i32_e64 s[12:13], v0, v5
	v_cmp_lt_u32_e64 s[8:9], 31, v1
	s_movk_i32 s19, 0x64
	v_cndmask_b32_e64 v0, v0, v1, s[12:13]
	v_lshlrev_b32_e32 v0, 2, v0
	v_cmp_eq_u32_e64 s[12:13], 0, v1
	v_mov_b32_e32 v1, s18
	s_branch .LBB162_2
.LBB162_1:                              ;   in Loop: Header=BB162_2 Depth=1
	s_or_b64 exec, exec, s[16:17]
	v_add_u32_e32 v4, s18, v4
	ds_bpermute_b32 v4, v0, v4
	s_add_i32 s19, s19, -1
	s_cmp_lg_u32 s19, 0
	s_waitcnt lgkmcnt(0)
	; wave barrier
	s_waitcnt lgkmcnt(0)
	v_cndmask_b32_e64 v4, v4, v1, s[12:13]
	s_cbranch_scc0 .LBB162_4
.LBB162_2:                              ; =>This Inner Loop Header: Depth=1
	s_waitcnt vmcnt(0)
	v_mov_b32_dpp v5, v4 row_shr:1 row_mask:0xf bank_mask:0xf
	v_cndmask_b32_e64 v5, v5, 0, vcc
	v_add_u32_e32 v4, v5, v4
	s_nop 1
	v_mov_b32_dpp v5, v4 row_shr:2 row_mask:0xf bank_mask:0xf
	v_cndmask_b32_e64 v5, 0, v5, s[0:1]
	v_add_u32_e32 v4, v4, v5
	s_nop 1
	v_mov_b32_dpp v5, v4 row_shr:4 row_mask:0xf bank_mask:0xf
	v_cndmask_b32_e64 v5, 0, v5, s[2:3]
	;; [unrolled: 4-line block ×3, first 2 shown]
	v_add_u32_e32 v4, v4, v5
	s_nop 1
	v_mov_b32_dpp v5, v4 row_bcast:15 row_mask:0xf bank_mask:0xf
	v_cndmask_b32_e64 v5, v5, 0, s[6:7]
	v_add_u32_e32 v4, v4, v5
	s_nop 1
	v_mov_b32_dpp v5, v4 row_bcast:31 row_mask:0xf bank_mask:0xf
	v_cndmask_b32_e64 v5, 0, v5, s[8:9]
	v_add_u32_e32 v4, v4, v5
	s_and_saveexec_b64 s[16:17], s[10:11]
	s_cbranch_execz .LBB162_1
; %bb.3:                                ;   in Loop: Header=BB162_2 Depth=1
	ds_write_b32 v3, v4
	s_branch .LBB162_1
.LBB162_4:
	v_mov_b32_e32 v0, s14
	v_mov_b32_e32 v1, s15
	v_lshl_add_u64 v[0:1], v[2:3], 2, v[0:1]
	global_store_dword v[0:1], v4, off
	s_endpgm
	.section	.rodata,"a",@progbits
	.p2align	6, 0x0
	.amdhsa_kernel _Z6kernelI14exclusive_scanILN6hipcub18BlockScanAlgorithmE0EEiLj64ELj1ELj100EEvPKT0_PS4_S4_
		.amdhsa_group_segment_fixed_size 4
		.amdhsa_private_segment_fixed_size 0
		.amdhsa_kernarg_size 280
		.amdhsa_user_sgpr_count 2
		.amdhsa_user_sgpr_dispatch_ptr 0
		.amdhsa_user_sgpr_queue_ptr 0
		.amdhsa_user_sgpr_kernarg_segment_ptr 1
		.amdhsa_user_sgpr_dispatch_id 0
		.amdhsa_user_sgpr_kernarg_preload_length 0
		.amdhsa_user_sgpr_kernarg_preload_offset 0
		.amdhsa_user_sgpr_private_segment_size 0
		.amdhsa_uses_dynamic_stack 0
		.amdhsa_enable_private_segment 0
		.amdhsa_system_sgpr_workgroup_id_x 1
		.amdhsa_system_sgpr_workgroup_id_y 0
		.amdhsa_system_sgpr_workgroup_id_z 0
		.amdhsa_system_sgpr_workgroup_info 0
		.amdhsa_system_vgpr_workitem_id 0
		.amdhsa_next_free_vgpr 6
		.amdhsa_next_free_sgpr 20
		.amdhsa_accum_offset 8
		.amdhsa_reserve_vcc 1
		.amdhsa_float_round_mode_32 0
		.amdhsa_float_round_mode_16_64 0
		.amdhsa_float_denorm_mode_32 3
		.amdhsa_float_denorm_mode_16_64 3
		.amdhsa_dx10_clamp 1
		.amdhsa_ieee_mode 1
		.amdhsa_fp16_overflow 0
		.amdhsa_tg_split 0
		.amdhsa_exception_fp_ieee_invalid_op 0
		.amdhsa_exception_fp_denorm_src 0
		.amdhsa_exception_fp_ieee_div_zero 0
		.amdhsa_exception_fp_ieee_overflow 0
		.amdhsa_exception_fp_ieee_underflow 0
		.amdhsa_exception_fp_ieee_inexact 0
		.amdhsa_exception_int_div_zero 0
	.end_amdhsa_kernel
	.section	.text._Z6kernelI14exclusive_scanILN6hipcub18BlockScanAlgorithmE0EEiLj64ELj1ELj100EEvPKT0_PS4_S4_,"axG",@progbits,_Z6kernelI14exclusive_scanILN6hipcub18BlockScanAlgorithmE0EEiLj64ELj1ELj100EEvPKT0_PS4_S4_,comdat
.Lfunc_end162:
	.size	_Z6kernelI14exclusive_scanILN6hipcub18BlockScanAlgorithmE0EEiLj64ELj1ELj100EEvPKT0_PS4_S4_, .Lfunc_end162-_Z6kernelI14exclusive_scanILN6hipcub18BlockScanAlgorithmE0EEiLj64ELj1ELj100EEvPKT0_PS4_S4_
                                        ; -- End function
	.section	.AMDGPU.csdata,"",@progbits
; Kernel info:
; codeLenInByte = 432
; NumSgprs: 26
; NumVgprs: 6
; NumAgprs: 0
; TotalNumVgprs: 6
; ScratchSize: 0
; MemoryBound: 0
; FloatMode: 240
; IeeeMode: 1
; LDSByteSize: 4 bytes/workgroup (compile time only)
; SGPRBlocks: 3
; VGPRBlocks: 0
; NumSGPRsForWavesPerEU: 26
; NumVGPRsForWavesPerEU: 6
; AccumOffset: 8
; Occupancy: 8
; WaveLimiterHint : 0
; COMPUTE_PGM_RSRC2:SCRATCH_EN: 0
; COMPUTE_PGM_RSRC2:USER_SGPR: 2
; COMPUTE_PGM_RSRC2:TRAP_HANDLER: 0
; COMPUTE_PGM_RSRC2:TGID_X_EN: 1
; COMPUTE_PGM_RSRC2:TGID_Y_EN: 0
; COMPUTE_PGM_RSRC2:TGID_Z_EN: 0
; COMPUTE_PGM_RSRC2:TIDIG_COMP_CNT: 0
; COMPUTE_PGM_RSRC3_GFX90A:ACCUM_OFFSET: 1
; COMPUTE_PGM_RSRC3_GFX90A:TG_SPLIT: 0
	.section	.text._Z6kernelI14exclusive_scanILN6hipcub18BlockScanAlgorithmE0EEiLj64ELj3ELj100EEvPKT0_PS4_S4_,"axG",@progbits,_Z6kernelI14exclusive_scanILN6hipcub18BlockScanAlgorithmE0EEiLj64ELj3ELj100EEvPKT0_PS4_S4_,comdat
	.protected	_Z6kernelI14exclusive_scanILN6hipcub18BlockScanAlgorithmE0EEiLj64ELj3ELj100EEvPKT0_PS4_S4_ ; -- Begin function _Z6kernelI14exclusive_scanILN6hipcub18BlockScanAlgorithmE0EEiLj64ELj3ELj100EEvPKT0_PS4_S4_
	.globl	_Z6kernelI14exclusive_scanILN6hipcub18BlockScanAlgorithmE0EEiLj64ELj3ELj100EEvPKT0_PS4_S4_
	.p2align	8
	.type	_Z6kernelI14exclusive_scanILN6hipcub18BlockScanAlgorithmE0EEiLj64ELj3ELj100EEvPKT0_PS4_S4_,@function
_Z6kernelI14exclusive_scanILN6hipcub18BlockScanAlgorithmE0EEiLj64ELj3ELj100EEvPKT0_PS4_S4_: ; @_Z6kernelI14exclusive_scanILN6hipcub18BlockScanAlgorithmE0EEiLj64ELj3ELj100EEvPKT0_PS4_S4_
; %bb.0:
	s_load_dword s3, s[0:1], 0x24
	s_load_dwordx4 s[16:19], s[0:1], 0x0
	s_load_dword s20, s[0:1], 0x10
	v_mov_b32_e32 v3, 0
	v_mov_b32_e32 v5, v3
	s_waitcnt lgkmcnt(0)
	s_and_b32 s0, s3, 0xffff
	s_mul_i32 s2, s2, s0
	v_add_u32_e32 v1, s2, v0
	v_lshl_add_u32 v2, v1, 1, v1
	v_lshl_add_u64 v[12:13], v[2:3], 2, s[16:17]
	v_add_u32_e32 v4, 1, v2
	v_add_u32_e32 v6, 2, v2
	v_mov_b32_e32 v7, v3
	v_lshl_add_u64 v[14:15], v[4:5], 2, s[16:17]
	v_lshl_add_u64 v[16:17], v[6:7], 2, s[16:17]
	global_load_dword v1, v[12:13], off
	global_load_dword v8, v[14:15], off
	;; [unrolled: 1-line block ×3, first 2 shown]
	v_mbcnt_lo_u32_b32 v9, -1, 0
	v_mbcnt_hi_u32_b32 v11, -1, v9
	v_and_b32_e32 v9, 15, v11
	v_cmp_eq_u32_e32 vcc, 0, v9
	v_cmp_lt_u32_e64 s[0:1], 1, v9
	v_cmp_lt_u32_e64 s[2:3], 3, v9
	;; [unrolled: 1-line block ×3, first 2 shown]
	v_and_b32_e32 v9, 16, v11
	v_cmp_eq_u32_e64 s[6:7], 0, v9
	v_add_u32_e32 v9, -1, v11
	v_and_b32_e32 v12, 64, v11
	v_cmp_lt_i32_e64 s[12:13], v9, v12
	v_cmp_eq_u32_e64 s[14:15], 0, v0
	v_cmp_lt_u32_e64 s[8:9], 31, v11
	v_cndmask_b32_e64 v9, v9, v11, s[12:13]
	v_cmp_eq_u32_e64 s[12:13], 0, v11
	v_cmp_eq_u32_e64 s[10:11], 63, v0
	v_lshlrev_b32_e32 v9, 2, v9
	s_or_b64 s[12:13], s[14:15], s[12:13]
	s_movk_i32 s16, 0x64
	v_mov_b32_e32 v0, s20
.LBB163_1:                              ; =>This Inner Loop Header: Depth=1
	s_waitcnt vmcnt(0)
	v_add3_u32 v10, v8, v1, v10
	s_nop 1
	v_mov_b32_dpp v11, v10 row_shr:1 row_mask:0xf bank_mask:0xf
	v_cndmask_b32_e64 v11, v11, 0, vcc
	v_add_u32_e32 v10, v10, v11
	s_nop 1
	v_mov_b32_dpp v11, v10 row_shr:2 row_mask:0xf bank_mask:0xf
	v_cndmask_b32_e64 v11, 0, v11, s[0:1]
	v_add_u32_e32 v10, v10, v11
	s_nop 1
	v_mov_b32_dpp v11, v10 row_shr:4 row_mask:0xf bank_mask:0xf
	v_cndmask_b32_e64 v11, 0, v11, s[2:3]
	;; [unrolled: 4-line block ×3, first 2 shown]
	v_add_u32_e32 v10, v10, v11
	s_nop 1
	v_mov_b32_dpp v11, v10 row_bcast:15 row_mask:0xf bank_mask:0xf
	v_cndmask_b32_e64 v11, v11, 0, s[6:7]
	v_add_u32_e32 v10, v10, v11
	s_nop 1
	v_mov_b32_dpp v11, v10 row_bcast:31 row_mask:0xf bank_mask:0xf
	v_cndmask_b32_e64 v11, 0, v11, s[8:9]
	v_add_u32_e32 v10, v10, v11
	s_and_saveexec_b64 s[14:15], s[10:11]
	s_cbranch_execz .LBB163_3
; %bb.2:                                ;   in Loop: Header=BB163_1 Depth=1
	ds_write_b32 v3, v10
.LBB163_3:                              ;   in Loop: Header=BB163_1 Depth=1
	s_or_b64 exec, exec, s[14:15]
	v_add_u32_e32 v10, s20, v10
	ds_bpermute_b32 v10, v9, v10
	s_add_i32 s16, s16, -1
	s_cmp_lg_u32 s16, 0
	s_waitcnt lgkmcnt(0)
	; wave barrier
	s_waitcnt lgkmcnt(0)
	v_cndmask_b32_e64 v12, v10, v0, s[12:13]
	v_add_u32_e32 v11, v12, v1
	v_add_u32_e32 v10, v11, v8
	s_cbranch_scc0 .LBB163_5
; %bb.4:                                ;   in Loop: Header=BB163_1 Depth=1
	v_mov_b32_e32 v1, v12
	v_mov_b32_e32 v8, v11
	s_branch .LBB163_1
.LBB163_5:
	v_lshl_add_u64 v[0:1], v[2:3], 2, s[18:19]
	global_store_dword v[0:1], v12, off
	v_lshl_add_u64 v[0:1], v[4:5], 2, s[18:19]
	global_store_dword v[0:1], v11, off
	;; [unrolled: 2-line block ×3, first 2 shown]
	s_endpgm
	.section	.rodata,"a",@progbits
	.p2align	6, 0x0
	.amdhsa_kernel _Z6kernelI14exclusive_scanILN6hipcub18BlockScanAlgorithmE0EEiLj64ELj3ELj100EEvPKT0_PS4_S4_
		.amdhsa_group_segment_fixed_size 4
		.amdhsa_private_segment_fixed_size 0
		.amdhsa_kernarg_size 280
		.amdhsa_user_sgpr_count 2
		.amdhsa_user_sgpr_dispatch_ptr 0
		.amdhsa_user_sgpr_queue_ptr 0
		.amdhsa_user_sgpr_kernarg_segment_ptr 1
		.amdhsa_user_sgpr_dispatch_id 0
		.amdhsa_user_sgpr_kernarg_preload_length 0
		.amdhsa_user_sgpr_kernarg_preload_offset 0
		.amdhsa_user_sgpr_private_segment_size 0
		.amdhsa_uses_dynamic_stack 0
		.amdhsa_enable_private_segment 0
		.amdhsa_system_sgpr_workgroup_id_x 1
		.amdhsa_system_sgpr_workgroup_id_y 0
		.amdhsa_system_sgpr_workgroup_id_z 0
		.amdhsa_system_sgpr_workgroup_info 0
		.amdhsa_system_vgpr_workitem_id 0
		.amdhsa_next_free_vgpr 18
		.amdhsa_next_free_sgpr 21
		.amdhsa_accum_offset 20
		.amdhsa_reserve_vcc 1
		.amdhsa_float_round_mode_32 0
		.amdhsa_float_round_mode_16_64 0
		.amdhsa_float_denorm_mode_32 3
		.amdhsa_float_denorm_mode_16_64 3
		.amdhsa_dx10_clamp 1
		.amdhsa_ieee_mode 1
		.amdhsa_fp16_overflow 0
		.amdhsa_tg_split 0
		.amdhsa_exception_fp_ieee_invalid_op 0
		.amdhsa_exception_fp_denorm_src 0
		.amdhsa_exception_fp_ieee_div_zero 0
		.amdhsa_exception_fp_ieee_overflow 0
		.amdhsa_exception_fp_ieee_underflow 0
		.amdhsa_exception_fp_ieee_inexact 0
		.amdhsa_exception_int_div_zero 0
	.end_amdhsa_kernel
	.section	.text._Z6kernelI14exclusive_scanILN6hipcub18BlockScanAlgorithmE0EEiLj64ELj3ELj100EEvPKT0_PS4_S4_,"axG",@progbits,_Z6kernelI14exclusive_scanILN6hipcub18BlockScanAlgorithmE0EEiLj64ELj3ELj100EEvPKT0_PS4_S4_,comdat
.Lfunc_end163:
	.size	_Z6kernelI14exclusive_scanILN6hipcub18BlockScanAlgorithmE0EEiLj64ELj3ELj100EEvPKT0_PS4_S4_, .Lfunc_end163-_Z6kernelI14exclusive_scanILN6hipcub18BlockScanAlgorithmE0EEiLj64ELj3ELj100EEvPKT0_PS4_S4_
                                        ; -- End function
	.section	.AMDGPU.csdata,"",@progbits
; Kernel info:
; codeLenInByte = 540
; NumSgprs: 27
; NumVgprs: 18
; NumAgprs: 0
; TotalNumVgprs: 18
; ScratchSize: 0
; MemoryBound: 0
; FloatMode: 240
; IeeeMode: 1
; LDSByteSize: 4 bytes/workgroup (compile time only)
; SGPRBlocks: 3
; VGPRBlocks: 2
; NumSGPRsForWavesPerEU: 27
; NumVGPRsForWavesPerEU: 18
; AccumOffset: 20
; Occupancy: 8
; WaveLimiterHint : 0
; COMPUTE_PGM_RSRC2:SCRATCH_EN: 0
; COMPUTE_PGM_RSRC2:USER_SGPR: 2
; COMPUTE_PGM_RSRC2:TRAP_HANDLER: 0
; COMPUTE_PGM_RSRC2:TGID_X_EN: 1
; COMPUTE_PGM_RSRC2:TGID_Y_EN: 0
; COMPUTE_PGM_RSRC2:TGID_Z_EN: 0
; COMPUTE_PGM_RSRC2:TIDIG_COMP_CNT: 0
; COMPUTE_PGM_RSRC3_GFX90A:ACCUM_OFFSET: 4
; COMPUTE_PGM_RSRC3_GFX90A:TG_SPLIT: 0
	.section	.text._Z6kernelI14exclusive_scanILN6hipcub18BlockScanAlgorithmE0EEiLj64ELj4ELj100EEvPKT0_PS4_S4_,"axG",@progbits,_Z6kernelI14exclusive_scanILN6hipcub18BlockScanAlgorithmE0EEiLj64ELj4ELj100EEvPKT0_PS4_S4_,comdat
	.protected	_Z6kernelI14exclusive_scanILN6hipcub18BlockScanAlgorithmE0EEiLj64ELj4ELj100EEvPKT0_PS4_S4_ ; -- Begin function _Z6kernelI14exclusive_scanILN6hipcub18BlockScanAlgorithmE0EEiLj64ELj4ELj100EEvPKT0_PS4_S4_
	.globl	_Z6kernelI14exclusive_scanILN6hipcub18BlockScanAlgorithmE0EEiLj64ELj4ELj100EEvPKT0_PS4_S4_
	.p2align	8
	.type	_Z6kernelI14exclusive_scanILN6hipcub18BlockScanAlgorithmE0EEiLj64ELj4ELj100EEvPKT0_PS4_S4_,@function
_Z6kernelI14exclusive_scanILN6hipcub18BlockScanAlgorithmE0EEiLj64ELj4ELj100EEvPKT0_PS4_S4_: ; @_Z6kernelI14exclusive_scanILN6hipcub18BlockScanAlgorithmE0EEiLj64ELj4ELj100EEvPKT0_PS4_S4_
; %bb.0:
	s_load_dwordx4 s[16:19], s[0:1], 0x0
	s_load_dword s3, s[0:1], 0x24
	s_load_dword s20, s[0:1], 0x10
	v_mov_b32_e32 v11, 0
	v_mbcnt_lo_u32_b32 v1, -1, 0
	s_waitcnt lgkmcnt(0)
	v_mov_b32_e32 v2, s16
	s_and_b32 s0, s3, 0xffff
	s_mul_i32 s2, s2, s0
	v_mov_b32_e32 v3, s17
	v_add_lshl_u32 v10, s2, v0, 2
	v_lshl_add_u64 v[2:3], v[10:11], 2, v[2:3]
	global_load_dwordx4 v[2:5], v[2:3], off
	v_mbcnt_hi_u32_b32 v6, -1, v1
	v_and_b32_e32 v1, 15, v6
	v_cmp_eq_u32_e32 vcc, 0, v1
	v_cmp_lt_u32_e64 s[0:1], 1, v1
	v_cmp_lt_u32_e64 s[2:3], 3, v1
	;; [unrolled: 1-line block ×3, first 2 shown]
	v_and_b32_e32 v1, 16, v6
	v_cmp_eq_u32_e64 s[6:7], 0, v1
	v_add_u32_e32 v1, -1, v6
	v_and_b32_e32 v7, 64, v6
	v_cmp_lt_i32_e64 s[12:13], v1, v7
	v_cmp_eq_u32_e64 s[14:15], 0, v0
	v_cmp_lt_u32_e64 s[8:9], 31, v6
	v_cndmask_b32_e64 v1, v1, v6, s[12:13]
	v_cmp_eq_u32_e64 s[12:13], 0, v6
	v_cmp_eq_u32_e64 s[10:11], 63, v0
	v_lshlrev_b32_e32 v1, 2, v1
	s_or_b64 s[12:13], s[14:15], s[12:13]
	s_movk_i32 s16, 0x64
	v_mov_b32_e32 v0, s20
.LBB164_1:                              ; =>This Inner Loop Header: Depth=1
	s_waitcnt vmcnt(0)
	v_add_u32_e32 v6, v3, v2
	v_add3_u32 v5, v6, v4, v5
	s_nop 1
	v_mov_b32_dpp v6, v5 row_shr:1 row_mask:0xf bank_mask:0xf
	v_cndmask_b32_e64 v6, v6, 0, vcc
	v_add_u32_e32 v5, v5, v6
	s_nop 1
	v_mov_b32_dpp v6, v5 row_shr:2 row_mask:0xf bank_mask:0xf
	v_cndmask_b32_e64 v6, 0, v6, s[0:1]
	v_add_u32_e32 v5, v5, v6
	s_nop 1
	v_mov_b32_dpp v6, v5 row_shr:4 row_mask:0xf bank_mask:0xf
	v_cndmask_b32_e64 v6, 0, v6, s[2:3]
	;; [unrolled: 4-line block ×3, first 2 shown]
	v_add_u32_e32 v5, v5, v6
	s_nop 1
	v_mov_b32_dpp v6, v5 row_bcast:15 row_mask:0xf bank_mask:0xf
	v_cndmask_b32_e64 v6, v6, 0, s[6:7]
	v_add_u32_e32 v5, v5, v6
	s_nop 1
	v_mov_b32_dpp v6, v5 row_bcast:31 row_mask:0xf bank_mask:0xf
	v_cndmask_b32_e64 v6, 0, v6, s[8:9]
	v_add_u32_e32 v5, v5, v6
	s_and_saveexec_b64 s[14:15], s[10:11]
	s_cbranch_execz .LBB164_3
; %bb.2:                                ;   in Loop: Header=BB164_1 Depth=1
	ds_write_b32 v11, v5
.LBB164_3:                              ;   in Loop: Header=BB164_1 Depth=1
	s_or_b64 exec, exec, s[14:15]
	v_add_u32_e32 v5, s20, v5
	ds_bpermute_b32 v5, v1, v5
	s_add_i32 s16, s16, -1
	s_cmp_lg_u32 s16, 0
	s_waitcnt lgkmcnt(0)
	; wave barrier
	s_waitcnt lgkmcnt(0)
	v_cndmask_b32_e64 v6, v5, v0, s[12:13]
	v_add_u32_e32 v7, v6, v2
	v_add_u32_e32 v8, v7, v3
	;; [unrolled: 1-line block ×3, first 2 shown]
	s_cbranch_scc0 .LBB164_5
; %bb.4:                                ;   in Loop: Header=BB164_1 Depth=1
	v_mov_b32_e32 v2, v6
	v_mov_b32_e32 v3, v7
	;; [unrolled: 1-line block ×3, first 2 shown]
	s_branch .LBB164_1
.LBB164_5:
	v_mov_b32_e32 v0, s18
	v_mov_b32_e32 v1, s19
	v_lshl_add_u64 v[0:1], v[10:11], 2, v[0:1]
	v_mov_b32_e32 v9, v5
	global_store_dwordx4 v[0:1], v[6:9], off
	s_endpgm
	.section	.rodata,"a",@progbits
	.p2align	6, 0x0
	.amdhsa_kernel _Z6kernelI14exclusive_scanILN6hipcub18BlockScanAlgorithmE0EEiLj64ELj4ELj100EEvPKT0_PS4_S4_
		.amdhsa_group_segment_fixed_size 4
		.amdhsa_private_segment_fixed_size 0
		.amdhsa_kernarg_size 280
		.amdhsa_user_sgpr_count 2
		.amdhsa_user_sgpr_dispatch_ptr 0
		.amdhsa_user_sgpr_queue_ptr 0
		.amdhsa_user_sgpr_kernarg_segment_ptr 1
		.amdhsa_user_sgpr_dispatch_id 0
		.amdhsa_user_sgpr_kernarg_preload_length 0
		.amdhsa_user_sgpr_kernarg_preload_offset 0
		.amdhsa_user_sgpr_private_segment_size 0
		.amdhsa_uses_dynamic_stack 0
		.amdhsa_enable_private_segment 0
		.amdhsa_system_sgpr_workgroup_id_x 1
		.amdhsa_system_sgpr_workgroup_id_y 0
		.amdhsa_system_sgpr_workgroup_id_z 0
		.amdhsa_system_sgpr_workgroup_info 0
		.amdhsa_system_vgpr_workitem_id 0
		.amdhsa_next_free_vgpr 12
		.amdhsa_next_free_sgpr 21
		.amdhsa_accum_offset 12
		.amdhsa_reserve_vcc 1
		.amdhsa_float_round_mode_32 0
		.amdhsa_float_round_mode_16_64 0
		.amdhsa_float_denorm_mode_32 3
		.amdhsa_float_denorm_mode_16_64 3
		.amdhsa_dx10_clamp 1
		.amdhsa_ieee_mode 1
		.amdhsa_fp16_overflow 0
		.amdhsa_tg_split 0
		.amdhsa_exception_fp_ieee_invalid_op 0
		.amdhsa_exception_fp_denorm_src 0
		.amdhsa_exception_fp_ieee_div_zero 0
		.amdhsa_exception_fp_ieee_overflow 0
		.amdhsa_exception_fp_ieee_underflow 0
		.amdhsa_exception_fp_ieee_inexact 0
		.amdhsa_exception_int_div_zero 0
	.end_amdhsa_kernel
	.section	.text._Z6kernelI14exclusive_scanILN6hipcub18BlockScanAlgorithmE0EEiLj64ELj4ELj100EEvPKT0_PS4_S4_,"axG",@progbits,_Z6kernelI14exclusive_scanILN6hipcub18BlockScanAlgorithmE0EEiLj64ELj4ELj100EEvPKT0_PS4_S4_,comdat
.Lfunc_end164:
	.size	_Z6kernelI14exclusive_scanILN6hipcub18BlockScanAlgorithmE0EEiLj64ELj4ELj100EEvPKT0_PS4_S4_, .Lfunc_end164-_Z6kernelI14exclusive_scanILN6hipcub18BlockScanAlgorithmE0EEiLj64ELj4ELj100EEvPKT0_PS4_S4_
                                        ; -- End function
	.section	.AMDGPU.csdata,"",@progbits
; Kernel info:
; codeLenInByte = 488
; NumSgprs: 27
; NumVgprs: 12
; NumAgprs: 0
; TotalNumVgprs: 12
; ScratchSize: 0
; MemoryBound: 0
; FloatMode: 240
; IeeeMode: 1
; LDSByteSize: 4 bytes/workgroup (compile time only)
; SGPRBlocks: 3
; VGPRBlocks: 1
; NumSGPRsForWavesPerEU: 27
; NumVGPRsForWavesPerEU: 12
; AccumOffset: 12
; Occupancy: 8
; WaveLimiterHint : 0
; COMPUTE_PGM_RSRC2:SCRATCH_EN: 0
; COMPUTE_PGM_RSRC2:USER_SGPR: 2
; COMPUTE_PGM_RSRC2:TRAP_HANDLER: 0
; COMPUTE_PGM_RSRC2:TGID_X_EN: 1
; COMPUTE_PGM_RSRC2:TGID_Y_EN: 0
; COMPUTE_PGM_RSRC2:TGID_Z_EN: 0
; COMPUTE_PGM_RSRC2:TIDIG_COMP_CNT: 0
; COMPUTE_PGM_RSRC3_GFX90A:ACCUM_OFFSET: 2
; COMPUTE_PGM_RSRC3_GFX90A:TG_SPLIT: 0
	.section	.text._Z6kernelI14exclusive_scanILN6hipcub18BlockScanAlgorithmE0EEiLj64ELj8ELj100EEvPKT0_PS4_S4_,"axG",@progbits,_Z6kernelI14exclusive_scanILN6hipcub18BlockScanAlgorithmE0EEiLj64ELj8ELj100EEvPKT0_PS4_S4_,comdat
	.protected	_Z6kernelI14exclusive_scanILN6hipcub18BlockScanAlgorithmE0EEiLj64ELj8ELj100EEvPKT0_PS4_S4_ ; -- Begin function _Z6kernelI14exclusive_scanILN6hipcub18BlockScanAlgorithmE0EEiLj64ELj8ELj100EEvPKT0_PS4_S4_
	.globl	_Z6kernelI14exclusive_scanILN6hipcub18BlockScanAlgorithmE0EEiLj64ELj8ELj100EEvPKT0_PS4_S4_
	.p2align	8
	.type	_Z6kernelI14exclusive_scanILN6hipcub18BlockScanAlgorithmE0EEiLj64ELj8ELj100EEvPKT0_PS4_S4_,@function
_Z6kernelI14exclusive_scanILN6hipcub18BlockScanAlgorithmE0EEiLj64ELj8ELj100EEvPKT0_PS4_S4_: ; @_Z6kernelI14exclusive_scanILN6hipcub18BlockScanAlgorithmE0EEiLj64ELj8ELj100EEvPKT0_PS4_S4_
; %bb.0:
	s_load_dwordx4 s[16:19], s[0:1], 0x0
	s_load_dword s3, s[0:1], 0x24
	s_load_dword s20, s[0:1], 0x10
	v_mov_b32_e32 v19, 0
	v_mbcnt_lo_u32_b32 v1, -1, 0
	s_waitcnt lgkmcnt(0)
	v_mov_b32_e32 v2, s16
	s_and_b32 s0, s3, 0xffff
	s_mul_i32 s2, s2, s0
	v_mov_b32_e32 v3, s17
	v_add_lshl_u32 v18, s2, v0, 3
	v_lshl_add_u64 v[10:11], v[18:19], 2, v[2:3]
	global_load_dwordx4 v[6:9], v[10:11], off
	global_load_dwordx4 v[2:5], v[10:11], off offset:16
	v_mbcnt_hi_u32_b32 v10, -1, v1
	v_and_b32_e32 v1, 15, v10
	v_cmp_eq_u32_e32 vcc, 0, v1
	v_cmp_lt_u32_e64 s[0:1], 1, v1
	v_cmp_lt_u32_e64 s[2:3], 3, v1
	;; [unrolled: 1-line block ×3, first 2 shown]
	v_and_b32_e32 v1, 16, v10
	v_cmp_eq_u32_e64 s[6:7], 0, v1
	v_add_u32_e32 v1, -1, v10
	v_and_b32_e32 v11, 64, v10
	v_cmp_lt_i32_e64 s[12:13], v1, v11
	v_cmp_eq_u32_e64 s[14:15], 0, v0
	v_cmp_lt_u32_e64 s[8:9], 31, v10
	v_cndmask_b32_e64 v1, v1, v10, s[12:13]
	v_cmp_eq_u32_e64 s[12:13], 0, v10
	v_cmp_eq_u32_e64 s[10:11], 63, v0
	v_lshlrev_b32_e32 v1, 2, v1
	s_or_b64 s[12:13], s[14:15], s[12:13]
	s_movk_i32 s16, 0x64
	v_mov_b32_e32 v0, s20
.LBB165_1:                              ; =>This Inner Loop Header: Depth=1
	s_waitcnt vmcnt(1)
	v_add_u32_e32 v10, v7, v6
	v_add3_u32 v10, v10, v8, v9
	s_waitcnt vmcnt(0)
	v_add3_u32 v10, v10, v2, v3
	v_add3_u32 v5, v10, v4, v5
	s_nop 1
	v_mov_b32_dpp v10, v5 row_shr:1 row_mask:0xf bank_mask:0xf
	v_cndmask_b32_e64 v10, v10, 0, vcc
	v_add_u32_e32 v5, v5, v10
	s_nop 1
	v_mov_b32_dpp v10, v5 row_shr:2 row_mask:0xf bank_mask:0xf
	v_cndmask_b32_e64 v10, 0, v10, s[0:1]
	v_add_u32_e32 v5, v5, v10
	s_nop 1
	v_mov_b32_dpp v10, v5 row_shr:4 row_mask:0xf bank_mask:0xf
	v_cndmask_b32_e64 v10, 0, v10, s[2:3]
	;; [unrolled: 4-line block ×3, first 2 shown]
	v_add_u32_e32 v5, v5, v10
	s_nop 1
	v_mov_b32_dpp v10, v5 row_bcast:15 row_mask:0xf bank_mask:0xf
	v_cndmask_b32_e64 v10, v10, 0, s[6:7]
	v_add_u32_e32 v5, v5, v10
	s_nop 1
	v_mov_b32_dpp v10, v5 row_bcast:31 row_mask:0xf bank_mask:0xf
	v_cndmask_b32_e64 v10, 0, v10, s[8:9]
	v_add_u32_e32 v5, v5, v10
	s_and_saveexec_b64 s[14:15], s[10:11]
	s_cbranch_execz .LBB165_3
; %bb.2:                                ;   in Loop: Header=BB165_1 Depth=1
	ds_write_b32 v19, v5
.LBB165_3:                              ;   in Loop: Header=BB165_1 Depth=1
	s_or_b64 exec, exec, s[14:15]
	v_add_u32_e32 v5, s20, v5
	ds_bpermute_b32 v5, v1, v5
	s_add_i32 s16, s16, -1
	s_cmp_lg_u32 s16, 0
	s_waitcnt lgkmcnt(0)
	; wave barrier
	s_waitcnt lgkmcnt(0)
	v_cndmask_b32_e64 v14, v5, v0, s[12:13]
	v_add_u32_e32 v15, v14, v6
	v_add_u32_e32 v16, v15, v7
	;; [unrolled: 1-line block ×7, first 2 shown]
	s_cbranch_scc0 .LBB165_5
; %bb.4:                                ;   in Loop: Header=BB165_1 Depth=1
	v_mov_b32_e32 v6, v14
	v_mov_b32_e32 v7, v15
	;; [unrolled: 1-line block ×7, first 2 shown]
	s_branch .LBB165_1
.LBB165_5:
	v_mov_b32_e32 v0, s18
	v_mov_b32_e32 v1, s19
	v_lshl_add_u64 v[0:1], v[18:19], 2, v[0:1]
	global_store_dwordx3 v[0:1], v[14:16], off
	global_store_dwordx4 v[0:1], v[10:13], off offset:12
	global_store_dword v[0:1], v5, off offset:28
	s_endpgm
	.section	.rodata,"a",@progbits
	.p2align	6, 0x0
	.amdhsa_kernel _Z6kernelI14exclusive_scanILN6hipcub18BlockScanAlgorithmE0EEiLj64ELj8ELj100EEvPKT0_PS4_S4_
		.amdhsa_group_segment_fixed_size 4
		.amdhsa_private_segment_fixed_size 0
		.amdhsa_kernarg_size 280
		.amdhsa_user_sgpr_count 2
		.amdhsa_user_sgpr_dispatch_ptr 0
		.amdhsa_user_sgpr_queue_ptr 0
		.amdhsa_user_sgpr_kernarg_segment_ptr 1
		.amdhsa_user_sgpr_dispatch_id 0
		.amdhsa_user_sgpr_kernarg_preload_length 0
		.amdhsa_user_sgpr_kernarg_preload_offset 0
		.amdhsa_user_sgpr_private_segment_size 0
		.amdhsa_uses_dynamic_stack 0
		.amdhsa_enable_private_segment 0
		.amdhsa_system_sgpr_workgroup_id_x 1
		.amdhsa_system_sgpr_workgroup_id_y 0
		.amdhsa_system_sgpr_workgroup_id_z 0
		.amdhsa_system_sgpr_workgroup_info 0
		.amdhsa_system_vgpr_workitem_id 0
		.amdhsa_next_free_vgpr 20
		.amdhsa_next_free_sgpr 21
		.amdhsa_accum_offset 20
		.amdhsa_reserve_vcc 1
		.amdhsa_float_round_mode_32 0
		.amdhsa_float_round_mode_16_64 0
		.amdhsa_float_denorm_mode_32 3
		.amdhsa_float_denorm_mode_16_64 3
		.amdhsa_dx10_clamp 1
		.amdhsa_ieee_mode 1
		.amdhsa_fp16_overflow 0
		.amdhsa_tg_split 0
		.amdhsa_exception_fp_ieee_invalid_op 0
		.amdhsa_exception_fp_denorm_src 0
		.amdhsa_exception_fp_ieee_div_zero 0
		.amdhsa_exception_fp_ieee_overflow 0
		.amdhsa_exception_fp_ieee_underflow 0
		.amdhsa_exception_fp_ieee_inexact 0
		.amdhsa_exception_int_div_zero 0
	.end_amdhsa_kernel
	.section	.text._Z6kernelI14exclusive_scanILN6hipcub18BlockScanAlgorithmE0EEiLj64ELj8ELj100EEvPKT0_PS4_S4_,"axG",@progbits,_Z6kernelI14exclusive_scanILN6hipcub18BlockScanAlgorithmE0EEiLj64ELj8ELj100EEvPKT0_PS4_S4_,comdat
.Lfunc_end165:
	.size	_Z6kernelI14exclusive_scanILN6hipcub18BlockScanAlgorithmE0EEiLj64ELj8ELj100EEvPKT0_PS4_S4_, .Lfunc_end165-_Z6kernelI14exclusive_scanILN6hipcub18BlockScanAlgorithmE0EEiLj64ELj8ELj100EEvPKT0_PS4_S4_
                                        ; -- End function
	.section	.AMDGPU.csdata,"",@progbits
; Kernel info:
; codeLenInByte = 560
; NumSgprs: 27
; NumVgprs: 20
; NumAgprs: 0
; TotalNumVgprs: 20
; ScratchSize: 0
; MemoryBound: 0
; FloatMode: 240
; IeeeMode: 1
; LDSByteSize: 4 bytes/workgroup (compile time only)
; SGPRBlocks: 3
; VGPRBlocks: 2
; NumSGPRsForWavesPerEU: 27
; NumVGPRsForWavesPerEU: 20
; AccumOffset: 20
; Occupancy: 8
; WaveLimiterHint : 0
; COMPUTE_PGM_RSRC2:SCRATCH_EN: 0
; COMPUTE_PGM_RSRC2:USER_SGPR: 2
; COMPUTE_PGM_RSRC2:TRAP_HANDLER: 0
; COMPUTE_PGM_RSRC2:TGID_X_EN: 1
; COMPUTE_PGM_RSRC2:TGID_Y_EN: 0
; COMPUTE_PGM_RSRC2:TGID_Z_EN: 0
; COMPUTE_PGM_RSRC2:TIDIG_COMP_CNT: 0
; COMPUTE_PGM_RSRC3_GFX90A:ACCUM_OFFSET: 4
; COMPUTE_PGM_RSRC3_GFX90A:TG_SPLIT: 0
	.section	.text._Z6kernelI14exclusive_scanILN6hipcub18BlockScanAlgorithmE0EEiLj64ELj11ELj100EEvPKT0_PS4_S4_,"axG",@progbits,_Z6kernelI14exclusive_scanILN6hipcub18BlockScanAlgorithmE0EEiLj64ELj11ELj100EEvPKT0_PS4_S4_,comdat
	.protected	_Z6kernelI14exclusive_scanILN6hipcub18BlockScanAlgorithmE0EEiLj64ELj11ELj100EEvPKT0_PS4_S4_ ; -- Begin function _Z6kernelI14exclusive_scanILN6hipcub18BlockScanAlgorithmE0EEiLj64ELj11ELj100EEvPKT0_PS4_S4_
	.globl	_Z6kernelI14exclusive_scanILN6hipcub18BlockScanAlgorithmE0EEiLj64ELj11ELj100EEvPKT0_PS4_S4_
	.p2align	8
	.type	_Z6kernelI14exclusive_scanILN6hipcub18BlockScanAlgorithmE0EEiLj64ELj11ELj100EEvPKT0_PS4_S4_,@function
_Z6kernelI14exclusive_scanILN6hipcub18BlockScanAlgorithmE0EEiLj64ELj11ELj100EEvPKT0_PS4_S4_: ; @_Z6kernelI14exclusive_scanILN6hipcub18BlockScanAlgorithmE0EEiLj64ELj11ELj100EEvPKT0_PS4_S4_
; %bb.0:
	s_load_dword s3, s[0:1], 0x24
	s_load_dwordx4 s[16:19], s[0:1], 0x0
	s_load_dword s20, s[0:1], 0x10
	v_mov_b32_e32 v3, 0
	v_mov_b32_e32 v5, v3
	s_waitcnt lgkmcnt(0)
	s_and_b32 s0, s3, 0xffff
	s_mul_i32 s2, s2, s0
	v_add_u32_e32 v1, s2, v0
	v_mul_lo_u32 v2, v1, 11
	v_lshl_add_u64 v[18:19], v[2:3], 2, s[16:17]
	v_add_u32_e32 v4, 1, v2
	v_add_u32_e32 v6, 2, v2
	v_mov_b32_e32 v7, v3
	v_add_u32_e32 v8, 3, v2
	v_mov_b32_e32 v9, v3
	v_add_u32_e32 v10, 4, v2
	v_mov_b32_e32 v11, v3
	v_add_u32_e32 v12, 5, v2
	v_mov_b32_e32 v13, v3
	v_add_u32_e32 v14, 6, v2
	v_mov_b32_e32 v15, v3
	v_add_u32_e32 v16, 7, v2
	v_mov_b32_e32 v17, v3
	v_lshl_add_u64 v[20:21], v[4:5], 2, s[16:17]
	v_lshl_add_u64 v[22:23], v[6:7], 2, s[16:17]
	;; [unrolled: 1-line block ×7, first 2 shown]
	global_load_dword v30, v[18:19], off
	global_load_dword v29, v[20:21], off
	;; [unrolled: 1-line block ×8, first 2 shown]
	v_add_u32_e32 v18, 8, v2
	v_mov_b32_e32 v19, v3
	v_lshl_add_u64 v[36:37], v[18:19], 2, s[16:17]
	v_add_u32_e32 v20, 9, v2
	v_mov_b32_e32 v21, v3
	v_add_u32_e32 v22, 10, v2
	v_mov_b32_e32 v23, v3
	v_lshl_add_u64 v[38:39], v[20:21], 2, s[16:17]
	v_lshl_add_u64 v[40:41], v[22:23], 2, s[16:17]
	global_load_dword v32, v[36:37], off
	global_load_dword v31, v[38:39], off
	;; [unrolled: 1-line block ×3, first 2 shown]
	v_mbcnt_lo_u32_b32 v33, -1, 0
	v_mbcnt_hi_u32_b32 v35, -1, v33
	v_and_b32_e32 v33, 15, v35
	v_cmp_eq_u32_e32 vcc, 0, v33
	v_cmp_lt_u32_e64 s[0:1], 1, v33
	v_cmp_lt_u32_e64 s[2:3], 3, v33
	;; [unrolled: 1-line block ×3, first 2 shown]
	v_and_b32_e32 v33, 16, v35
	v_cmp_eq_u32_e64 s[6:7], 0, v33
	v_add_u32_e32 v33, -1, v35
	v_and_b32_e32 v36, 64, v35
	v_cmp_lt_i32_e64 s[12:13], v33, v36
	v_cmp_eq_u32_e64 s[14:15], 0, v0
	v_cmp_lt_u32_e64 s[8:9], 31, v35
	v_cndmask_b32_e64 v33, v33, v35, s[12:13]
	v_cmp_eq_u32_e64 s[12:13], 0, v35
	v_cmp_eq_u32_e64 s[10:11], 63, v0
	v_lshlrev_b32_e32 v33, 2, v33
	s_or_b64 s[12:13], s[14:15], s[12:13]
	s_movk_i32 s16, 0x64
	v_mov_b32_e32 v0, s20
.LBB166_1:                              ; =>This Inner Loop Header: Depth=1
	s_waitcnt vmcnt(0)
	v_add3_u32 v34, v31, v34, v32
	v_add3_u32 v34, v34, v1, v24
	;; [unrolled: 1-line block ×5, first 2 shown]
	s_nop 1
	v_mov_b32_dpp v35, v34 row_shr:1 row_mask:0xf bank_mask:0xf
	v_cndmask_b32_e64 v35, v35, 0, vcc
	v_add_u32_e32 v34, v34, v35
	s_nop 1
	v_mov_b32_dpp v35, v34 row_shr:2 row_mask:0xf bank_mask:0xf
	v_cndmask_b32_e64 v35, 0, v35, s[0:1]
	v_add_u32_e32 v34, v34, v35
	s_nop 1
	v_mov_b32_dpp v35, v34 row_shr:4 row_mask:0xf bank_mask:0xf
	v_cndmask_b32_e64 v35, 0, v35, s[2:3]
	;; [unrolled: 4-line block ×3, first 2 shown]
	v_add_u32_e32 v34, v34, v35
	s_nop 1
	v_mov_b32_dpp v35, v34 row_bcast:15 row_mask:0xf bank_mask:0xf
	v_cndmask_b32_e64 v35, v35, 0, s[6:7]
	v_add_u32_e32 v34, v34, v35
	s_nop 1
	v_mov_b32_dpp v35, v34 row_bcast:31 row_mask:0xf bank_mask:0xf
	v_cndmask_b32_e64 v35, 0, v35, s[8:9]
	v_add_u32_e32 v34, v34, v35
	s_and_saveexec_b64 s[14:15], s[10:11]
	s_cbranch_execz .LBB166_3
; %bb.2:                                ;   in Loop: Header=BB166_1 Depth=1
	ds_write_b32 v3, v34
.LBB166_3:                              ;   in Loop: Header=BB166_1 Depth=1
	s_or_b64 exec, exec, s[14:15]
	v_add_u32_e32 v34, s20, v34
	ds_bpermute_b32 v34, v33, v34
	s_add_i32 s16, s16, -1
	s_cmp_lg_u32 s16, 0
	s_waitcnt lgkmcnt(0)
	; wave barrier
	s_waitcnt lgkmcnt(0)
	v_cndmask_b32_e64 v35, v34, v0, s[12:13]
	v_add_u32_e32 v30, v35, v30
	v_add_u32_e32 v29, v30, v29
	;; [unrolled: 1-line block ×10, first 2 shown]
	s_cbranch_scc0 .LBB166_5
; %bb.4:                                ;   in Loop: Header=BB166_1 Depth=1
	v_mov_b32_e32 v31, v32
	v_mov_b32_e32 v32, v1
	;; [unrolled: 1-line block ×10, first 2 shown]
	s_branch .LBB166_1
.LBB166_5:
	v_lshl_add_u64 v[2:3], v[2:3], 2, s[18:19]
	global_store_dword v[2:3], v35, off
	v_lshl_add_u64 v[2:3], v[4:5], 2, s[18:19]
	global_store_dword v[2:3], v30, off
	;; [unrolled: 2-line block ×11, first 2 shown]
	s_endpgm
	.section	.rodata,"a",@progbits
	.p2align	6, 0x0
	.amdhsa_kernel _Z6kernelI14exclusive_scanILN6hipcub18BlockScanAlgorithmE0EEiLj64ELj11ELj100EEvPKT0_PS4_S4_
		.amdhsa_group_segment_fixed_size 4
		.amdhsa_private_segment_fixed_size 0
		.amdhsa_kernarg_size 280
		.amdhsa_user_sgpr_count 2
		.amdhsa_user_sgpr_dispatch_ptr 0
		.amdhsa_user_sgpr_queue_ptr 0
		.amdhsa_user_sgpr_kernarg_segment_ptr 1
		.amdhsa_user_sgpr_dispatch_id 0
		.amdhsa_user_sgpr_kernarg_preload_length 0
		.amdhsa_user_sgpr_kernarg_preload_offset 0
		.amdhsa_user_sgpr_private_segment_size 0
		.amdhsa_uses_dynamic_stack 0
		.amdhsa_enable_private_segment 0
		.amdhsa_system_sgpr_workgroup_id_x 1
		.amdhsa_system_sgpr_workgroup_id_y 0
		.amdhsa_system_sgpr_workgroup_id_z 0
		.amdhsa_system_sgpr_workgroup_info 0
		.amdhsa_system_vgpr_workitem_id 0
		.amdhsa_next_free_vgpr 42
		.amdhsa_next_free_sgpr 21
		.amdhsa_accum_offset 44
		.amdhsa_reserve_vcc 1
		.amdhsa_float_round_mode_32 0
		.amdhsa_float_round_mode_16_64 0
		.amdhsa_float_denorm_mode_32 3
		.amdhsa_float_denorm_mode_16_64 3
		.amdhsa_dx10_clamp 1
		.amdhsa_ieee_mode 1
		.amdhsa_fp16_overflow 0
		.amdhsa_tg_split 0
		.amdhsa_exception_fp_ieee_invalid_op 0
		.amdhsa_exception_fp_denorm_src 0
		.amdhsa_exception_fp_ieee_div_zero 0
		.amdhsa_exception_fp_ieee_overflow 0
		.amdhsa_exception_fp_ieee_underflow 0
		.amdhsa_exception_fp_ieee_inexact 0
		.amdhsa_exception_int_div_zero 0
	.end_amdhsa_kernel
	.section	.text._Z6kernelI14exclusive_scanILN6hipcub18BlockScanAlgorithmE0EEiLj64ELj11ELj100EEvPKT0_PS4_S4_,"axG",@progbits,_Z6kernelI14exclusive_scanILN6hipcub18BlockScanAlgorithmE0EEiLj64ELj11ELj100EEvPKT0_PS4_S4_,comdat
.Lfunc_end166:
	.size	_Z6kernelI14exclusive_scanILN6hipcub18BlockScanAlgorithmE0EEiLj64ELj11ELj100EEvPKT0_PS4_S4_, .Lfunc_end166-_Z6kernelI14exclusive_scanILN6hipcub18BlockScanAlgorithmE0EEiLj64ELj11ELj100EEvPKT0_PS4_S4_
                                        ; -- End function
	.section	.AMDGPU.csdata,"",@progbits
; Kernel info:
; codeLenInByte = 956
; NumSgprs: 27
; NumVgprs: 42
; NumAgprs: 0
; TotalNumVgprs: 42
; ScratchSize: 0
; MemoryBound: 0
; FloatMode: 240
; IeeeMode: 1
; LDSByteSize: 4 bytes/workgroup (compile time only)
; SGPRBlocks: 3
; VGPRBlocks: 5
; NumSGPRsForWavesPerEU: 27
; NumVGPRsForWavesPerEU: 42
; AccumOffset: 44
; Occupancy: 8
; WaveLimiterHint : 0
; COMPUTE_PGM_RSRC2:SCRATCH_EN: 0
; COMPUTE_PGM_RSRC2:USER_SGPR: 2
; COMPUTE_PGM_RSRC2:TRAP_HANDLER: 0
; COMPUTE_PGM_RSRC2:TGID_X_EN: 1
; COMPUTE_PGM_RSRC2:TGID_Y_EN: 0
; COMPUTE_PGM_RSRC2:TGID_Z_EN: 0
; COMPUTE_PGM_RSRC2:TIDIG_COMP_CNT: 0
; COMPUTE_PGM_RSRC3_GFX90A:ACCUM_OFFSET: 10
; COMPUTE_PGM_RSRC3_GFX90A:TG_SPLIT: 0
	.section	.text._Z6kernelI14exclusive_scanILN6hipcub18BlockScanAlgorithmE0EEiLj64ELj16ELj100EEvPKT0_PS4_S4_,"axG",@progbits,_Z6kernelI14exclusive_scanILN6hipcub18BlockScanAlgorithmE0EEiLj64ELj16ELj100EEvPKT0_PS4_S4_,comdat
	.protected	_Z6kernelI14exclusive_scanILN6hipcub18BlockScanAlgorithmE0EEiLj64ELj16ELj100EEvPKT0_PS4_S4_ ; -- Begin function _Z6kernelI14exclusive_scanILN6hipcub18BlockScanAlgorithmE0EEiLj64ELj16ELj100EEvPKT0_PS4_S4_
	.globl	_Z6kernelI14exclusive_scanILN6hipcub18BlockScanAlgorithmE0EEiLj64ELj16ELj100EEvPKT0_PS4_S4_
	.p2align	8
	.type	_Z6kernelI14exclusive_scanILN6hipcub18BlockScanAlgorithmE0EEiLj64ELj16ELj100EEvPKT0_PS4_S4_,@function
_Z6kernelI14exclusive_scanILN6hipcub18BlockScanAlgorithmE0EEiLj64ELj16ELj100EEvPKT0_PS4_S4_: ; @_Z6kernelI14exclusive_scanILN6hipcub18BlockScanAlgorithmE0EEiLj64ELj16ELj100EEvPKT0_PS4_S4_
; %bb.0:
	s_load_dwordx4 s[16:19], s[0:1], 0x0
	s_load_dword s3, s[0:1], 0x24
	s_load_dword s20, s[0:1], 0x10
	v_mov_b32_e32 v27, 0
	v_mbcnt_lo_u32_b32 v1, -1, 0
	s_waitcnt lgkmcnt(0)
	v_mov_b32_e32 v2, s16
	s_and_b32 s0, s3, 0xffff
	s_mul_i32 s2, s2, s0
	v_mov_b32_e32 v3, s17
	v_add_lshl_u32 v26, s2, v0, 4
	v_lshl_add_u64 v[18:19], v[26:27], 2, v[2:3]
	global_load_dwordx4 v[2:5], v[18:19], off offset:48
	global_load_dwordx4 v[6:9], v[18:19], off offset:32
	global_load_dwordx4 v[10:13], v[18:19], off
	global_load_dwordx4 v[14:17], v[18:19], off offset:16
	v_mbcnt_hi_u32_b32 v1, -1, v1
	v_and_b32_e32 v18, 15, v1
	v_cmp_eq_u32_e32 vcc, 0, v18
	v_cmp_lt_u32_e64 s[0:1], 1, v18
	v_cmp_lt_u32_e64 s[2:3], 3, v18
	v_cmp_lt_u32_e64 s[4:5], 7, v18
	v_and_b32_e32 v18, 16, v1
	v_cmp_eq_u32_e64 s[6:7], 0, v18
	v_add_u32_e32 v18, -1, v1
	v_and_b32_e32 v19, 64, v1
	v_cmp_lt_i32_e64 s[12:13], v18, v19
	v_cmp_eq_u32_e64 s[14:15], 0, v0
	v_cmp_lt_u32_e64 s[8:9], 31, v1
	v_cndmask_b32_e64 v18, v18, v1, s[12:13]
	v_cmp_eq_u32_e64 s[12:13], 0, v1
	v_cmp_eq_u32_e64 s[10:11], 63, v0
	v_lshlrev_b32_e32 v28, 2, v18
	s_or_b64 s[12:13], s[14:15], s[12:13]
	s_movk_i32 s16, 0x64
.LBB167_1:                              ; =>This Inner Loop Header: Depth=1
	s_waitcnt vmcnt(3)
	v_add_u32_e32 v0, v4, v5
	v_add3_u32 v0, v0, v3, v2
	s_waitcnt vmcnt(2)
	v_add3_u32 v0, v0, v9, v8
	v_add3_u32 v0, v0, v7, v6
	s_waitcnt vmcnt(0)
	v_add3_u32 v0, v0, v17, v16
	v_add3_u32 v0, v0, v15, v14
	v_add3_u32 v0, v0, v13, v12
	v_add3_u32 v0, v0, v11, v10
	s_nop 1
	v_mov_b32_dpp v1, v0 row_shr:1 row_mask:0xf bank_mask:0xf
	v_cndmask_b32_e64 v1, v1, 0, vcc
	v_add_u32_e32 v0, v0, v1
	s_nop 1
	v_mov_b32_dpp v1, v0 row_shr:2 row_mask:0xf bank_mask:0xf
	v_cndmask_b32_e64 v1, 0, v1, s[0:1]
	v_add_u32_e32 v0, v0, v1
	s_nop 1
	v_mov_b32_dpp v1, v0 row_shr:4 row_mask:0xf bank_mask:0xf
	v_cndmask_b32_e64 v1, 0, v1, s[2:3]
	;; [unrolled: 4-line block ×3, first 2 shown]
	v_add_u32_e32 v0, v0, v1
	s_nop 1
	v_mov_b32_dpp v1, v0 row_bcast:15 row_mask:0xf bank_mask:0xf
	v_cndmask_b32_e64 v1, v1, 0, s[6:7]
	v_add_u32_e32 v0, v0, v1
	s_nop 1
	v_mov_b32_dpp v1, v0 row_bcast:31 row_mask:0xf bank_mask:0xf
	v_cndmask_b32_e64 v1, 0, v1, s[8:9]
	v_add_u32_e32 v0, v0, v1
	s_and_saveexec_b64 s[14:15], s[10:11]
	s_cbranch_execz .LBB167_3
; %bb.2:                                ;   in Loop: Header=BB167_1 Depth=1
	ds_write_b32 v27, v0
.LBB167_3:                              ;   in Loop: Header=BB167_1 Depth=1
	s_or_b64 exec, exec, s[14:15]
	v_add_u32_e32 v0, s20, v0
	ds_bpermute_b32 v0, v28, v0
	v_mov_b32_e32 v1, s20
	s_add_i32 s16, s16, -1
	s_cmp_lg_u32 s16, 0
	s_waitcnt lgkmcnt(0)
	v_cndmask_b32_e64 v18, v0, v1, s[12:13]
	v_add_u32_e32 v19, v18, v10
	v_add_u32_e32 v20, v19, v11
	;; [unrolled: 1-line block ×15, first 2 shown]
	; wave barrier
	s_cbranch_scc0 .LBB167_5
; %bb.4:                                ;   in Loop: Header=BB167_1 Depth=1
	v_mov_b32_e32 v11, v19
	v_mov_b32_e32 v10, v18
	v_mov_b32_e32 v4, v2
	v_mov_b32_e32 v2, v0
	v_mov_b32_e32 v3, v1
	v_mov_b32_e32 v8, v24
	v_mov_b32_e32 v9, v25
	v_mov_b32_e32 v6, v22
	v_mov_b32_e32 v7, v23
	v_mov_b32_e32 v16, v14
	v_mov_b32_e32 v17, v15
	v_mov_b32_e32 v14, v12
	v_mov_b32_e32 v15, v13
	v_mov_b32_e32 v12, v20
	v_mov_b32_e32 v13, v21
	s_branch .LBB167_1
.LBB167_5:
	v_mov_b32_e32 v6, s18
	v_mov_b32_e32 v7, s19
	v_lshl_add_u64 v[6:7], v[26:27], 2, v[6:7]
	v_mov_b32_e32 v3, v5
	global_store_dwordx4 v[6:7], v[18:21], off
	global_store_dwordx4 v[6:7], v[12:15], off offset:16
	global_store_dwordx4 v[6:7], v[22:25], off offset:32
	;; [unrolled: 1-line block ×3, first 2 shown]
	s_endpgm
	.section	.rodata,"a",@progbits
	.p2align	6, 0x0
	.amdhsa_kernel _Z6kernelI14exclusive_scanILN6hipcub18BlockScanAlgorithmE0EEiLj64ELj16ELj100EEvPKT0_PS4_S4_
		.amdhsa_group_segment_fixed_size 4
		.amdhsa_private_segment_fixed_size 0
		.amdhsa_kernarg_size 280
		.amdhsa_user_sgpr_count 2
		.amdhsa_user_sgpr_dispatch_ptr 0
		.amdhsa_user_sgpr_queue_ptr 0
		.amdhsa_user_sgpr_kernarg_segment_ptr 1
		.amdhsa_user_sgpr_dispatch_id 0
		.amdhsa_user_sgpr_kernarg_preload_length 0
		.amdhsa_user_sgpr_kernarg_preload_offset 0
		.amdhsa_user_sgpr_private_segment_size 0
		.amdhsa_uses_dynamic_stack 0
		.amdhsa_enable_private_segment 0
		.amdhsa_system_sgpr_workgroup_id_x 1
		.amdhsa_system_sgpr_workgroup_id_y 0
		.amdhsa_system_sgpr_workgroup_id_z 0
		.amdhsa_system_sgpr_workgroup_info 0
		.amdhsa_system_vgpr_workitem_id 0
		.amdhsa_next_free_vgpr 29
		.amdhsa_next_free_sgpr 21
		.amdhsa_accum_offset 32
		.amdhsa_reserve_vcc 1
		.amdhsa_float_round_mode_32 0
		.amdhsa_float_round_mode_16_64 0
		.amdhsa_float_denorm_mode_32 3
		.amdhsa_float_denorm_mode_16_64 3
		.amdhsa_dx10_clamp 1
		.amdhsa_ieee_mode 1
		.amdhsa_fp16_overflow 0
		.amdhsa_tg_split 0
		.amdhsa_exception_fp_ieee_invalid_op 0
		.amdhsa_exception_fp_denorm_src 0
		.amdhsa_exception_fp_ieee_div_zero 0
		.amdhsa_exception_fp_ieee_overflow 0
		.amdhsa_exception_fp_ieee_underflow 0
		.amdhsa_exception_fp_ieee_inexact 0
		.amdhsa_exception_int_div_zero 0
	.end_amdhsa_kernel
	.section	.text._Z6kernelI14exclusive_scanILN6hipcub18BlockScanAlgorithmE0EEiLj64ELj16ELj100EEvPKT0_PS4_S4_,"axG",@progbits,_Z6kernelI14exclusive_scanILN6hipcub18BlockScanAlgorithmE0EEiLj64ELj16ELj100EEvPKT0_PS4_S4_,comdat
.Lfunc_end167:
	.size	_Z6kernelI14exclusive_scanILN6hipcub18BlockScanAlgorithmE0EEiLj64ELj16ELj100EEvPKT0_PS4_S4_, .Lfunc_end167-_Z6kernelI14exclusive_scanILN6hipcub18BlockScanAlgorithmE0EEiLj64ELj16ELj100EEvPKT0_PS4_S4_
                                        ; -- End function
	.section	.AMDGPU.csdata,"",@progbits
; Kernel info:
; codeLenInByte = 684
; NumSgprs: 27
; NumVgprs: 29
; NumAgprs: 0
; TotalNumVgprs: 29
; ScratchSize: 0
; MemoryBound: 0
; FloatMode: 240
; IeeeMode: 1
; LDSByteSize: 4 bytes/workgroup (compile time only)
; SGPRBlocks: 3
; VGPRBlocks: 3
; NumSGPRsForWavesPerEU: 27
; NumVGPRsForWavesPerEU: 29
; AccumOffset: 32
; Occupancy: 8
; WaveLimiterHint : 0
; COMPUTE_PGM_RSRC2:SCRATCH_EN: 0
; COMPUTE_PGM_RSRC2:USER_SGPR: 2
; COMPUTE_PGM_RSRC2:TRAP_HANDLER: 0
; COMPUTE_PGM_RSRC2:TGID_X_EN: 1
; COMPUTE_PGM_RSRC2:TGID_Y_EN: 0
; COMPUTE_PGM_RSRC2:TGID_Z_EN: 0
; COMPUTE_PGM_RSRC2:TIDIG_COMP_CNT: 0
; COMPUTE_PGM_RSRC3_GFX90A:ACCUM_OFFSET: 7
; COMPUTE_PGM_RSRC3_GFX90A:TG_SPLIT: 0
	.section	.text._Z6kernelI14exclusive_scanILN6hipcub18BlockScanAlgorithmE0EEfLj64ELj1ELj100EEvPKT0_PS4_S4_,"axG",@progbits,_Z6kernelI14exclusive_scanILN6hipcub18BlockScanAlgorithmE0EEfLj64ELj1ELj100EEvPKT0_PS4_S4_,comdat
	.protected	_Z6kernelI14exclusive_scanILN6hipcub18BlockScanAlgorithmE0EEfLj64ELj1ELj100EEvPKT0_PS4_S4_ ; -- Begin function _Z6kernelI14exclusive_scanILN6hipcub18BlockScanAlgorithmE0EEfLj64ELj1ELj100EEvPKT0_PS4_S4_
	.globl	_Z6kernelI14exclusive_scanILN6hipcub18BlockScanAlgorithmE0EEfLj64ELj1ELj100EEvPKT0_PS4_S4_
	.p2align	8
	.type	_Z6kernelI14exclusive_scanILN6hipcub18BlockScanAlgorithmE0EEfLj64ELj1ELj100EEvPKT0_PS4_S4_,@function
_Z6kernelI14exclusive_scanILN6hipcub18BlockScanAlgorithmE0EEfLj64ELj1ELj100EEvPKT0_PS4_S4_: ; @_Z6kernelI14exclusive_scanILN6hipcub18BlockScanAlgorithmE0EEfLj64ELj1ELj100EEvPKT0_PS4_S4_
; %bb.0:
	s_load_dwordx4 s[12:15], s[0:1], 0x0
	s_load_dword s3, s[0:1], 0x24
	s_load_dword s18, s[0:1], 0x10
	v_mov_b32_e32 v3, 0
	v_mbcnt_lo_u32_b32 v1, -1, 0
	s_waitcnt lgkmcnt(0)
	v_mov_b32_e32 v4, s12
	s_and_b32 s0, s3, 0xffff
	s_mul_i32 s2, s2, s0
	v_mov_b32_e32 v5, s13
	v_add_u32_e32 v2, s2, v0
	v_lshl_add_u64 v[4:5], v[2:3], 2, v[4:5]
	global_load_dword v4, v[4:5], off
	v_mbcnt_hi_u32_b32 v1, -1, v1
	v_and_b32_e32 v5, 15, v1
	v_cmp_eq_u32_e32 vcc, 0, v5
	v_cmp_lt_u32_e64 s[0:1], 1, v5
	v_cmp_lt_u32_e64 s[2:3], 3, v5
	;; [unrolled: 1-line block ×3, first 2 shown]
	v_and_b32_e32 v5, 16, v1
	v_cmp_eq_u32_e64 s[6:7], 0, v5
	v_cmp_eq_u32_e64 s[10:11], 63, v0
	v_add_u32_e32 v0, -1, v1
	v_and_b32_e32 v5, 64, v1
	v_cmp_lt_i32_e64 s[12:13], v0, v5
	v_cmp_lt_u32_e64 s[8:9], 31, v1
	s_movk_i32 s19, 0x64
	v_cndmask_b32_e64 v0, v0, v1, s[12:13]
	v_lshlrev_b32_e32 v0, 2, v0
	v_cmp_eq_u32_e64 s[12:13], 0, v1
	v_mov_b32_e32 v1, s18
	s_branch .LBB168_2
.LBB168_1:                              ;   in Loop: Header=BB168_2 Depth=1
	s_or_b64 exec, exec, s[16:17]
	v_add_f32_e32 v4, s18, v4
	ds_bpermute_b32 v4, v0, v4
	s_add_i32 s19, s19, -1
	s_cmp_lg_u32 s19, 0
	s_waitcnt lgkmcnt(0)
	; wave barrier
	s_waitcnt lgkmcnt(0)
	v_cndmask_b32_e64 v4, v4, v1, s[12:13]
	s_cbranch_scc0 .LBB168_4
.LBB168_2:                              ; =>This Inner Loop Header: Depth=1
	s_waitcnt vmcnt(0)
	v_mov_b32_dpp v5, v4 row_shr:1 row_mask:0xf bank_mask:0xf
	v_add_f32_e32 v5, v4, v5
	v_cndmask_b32_e32 v4, v5, v4, vcc
	s_nop 1
	v_mov_b32_dpp v5, v4 row_shr:2 row_mask:0xf bank_mask:0xf
	v_add_f32_e32 v5, v4, v5
	v_cndmask_b32_e64 v4, v4, v5, s[0:1]
	s_nop 1
	v_mov_b32_dpp v5, v4 row_shr:4 row_mask:0xf bank_mask:0xf
	v_add_f32_e32 v5, v4, v5
	v_cndmask_b32_e64 v4, v4, v5, s[2:3]
	;; [unrolled: 4-line block ×3, first 2 shown]
	s_nop 1
	v_mov_b32_dpp v5, v4 row_bcast:15 row_mask:0xf bank_mask:0xf
	v_add_f32_e32 v5, v4, v5
	v_cndmask_b32_e64 v4, v5, v4, s[6:7]
	s_nop 1
	v_mov_b32_dpp v5, v4 row_bcast:31 row_mask:0xf bank_mask:0xf
	v_add_f32_e32 v5, v4, v5
	v_cndmask_b32_e64 v4, v4, v5, s[8:9]
	s_and_saveexec_b64 s[16:17], s[10:11]
	s_cbranch_execz .LBB168_1
; %bb.3:                                ;   in Loop: Header=BB168_2 Depth=1
	ds_write_b32 v3, v4
	s_branch .LBB168_1
.LBB168_4:
	v_mov_b32_e32 v0, s14
	v_mov_b32_e32 v1, s15
	v_lshl_add_u64 v[0:1], v[2:3], 2, v[0:1]
	global_store_dword v[0:1], v4, off
	s_endpgm
	.section	.rodata,"a",@progbits
	.p2align	6, 0x0
	.amdhsa_kernel _Z6kernelI14exclusive_scanILN6hipcub18BlockScanAlgorithmE0EEfLj64ELj1ELj100EEvPKT0_PS4_S4_
		.amdhsa_group_segment_fixed_size 4
		.amdhsa_private_segment_fixed_size 0
		.amdhsa_kernarg_size 280
		.amdhsa_user_sgpr_count 2
		.amdhsa_user_sgpr_dispatch_ptr 0
		.amdhsa_user_sgpr_queue_ptr 0
		.amdhsa_user_sgpr_kernarg_segment_ptr 1
		.amdhsa_user_sgpr_dispatch_id 0
		.amdhsa_user_sgpr_kernarg_preload_length 0
		.amdhsa_user_sgpr_kernarg_preload_offset 0
		.amdhsa_user_sgpr_private_segment_size 0
		.amdhsa_uses_dynamic_stack 0
		.amdhsa_enable_private_segment 0
		.amdhsa_system_sgpr_workgroup_id_x 1
		.amdhsa_system_sgpr_workgroup_id_y 0
		.amdhsa_system_sgpr_workgroup_id_z 0
		.amdhsa_system_sgpr_workgroup_info 0
		.amdhsa_system_vgpr_workitem_id 0
		.amdhsa_next_free_vgpr 6
		.amdhsa_next_free_sgpr 20
		.amdhsa_accum_offset 8
		.amdhsa_reserve_vcc 1
		.amdhsa_float_round_mode_32 0
		.amdhsa_float_round_mode_16_64 0
		.amdhsa_float_denorm_mode_32 3
		.amdhsa_float_denorm_mode_16_64 3
		.amdhsa_dx10_clamp 1
		.amdhsa_ieee_mode 1
		.amdhsa_fp16_overflow 0
		.amdhsa_tg_split 0
		.amdhsa_exception_fp_ieee_invalid_op 0
		.amdhsa_exception_fp_denorm_src 0
		.amdhsa_exception_fp_ieee_div_zero 0
		.amdhsa_exception_fp_ieee_overflow 0
		.amdhsa_exception_fp_ieee_underflow 0
		.amdhsa_exception_fp_ieee_inexact 0
		.amdhsa_exception_int_div_zero 0
	.end_amdhsa_kernel
	.section	.text._Z6kernelI14exclusive_scanILN6hipcub18BlockScanAlgorithmE0EEfLj64ELj1ELj100EEvPKT0_PS4_S4_,"axG",@progbits,_Z6kernelI14exclusive_scanILN6hipcub18BlockScanAlgorithmE0EEfLj64ELj1ELj100EEvPKT0_PS4_S4_,comdat
.Lfunc_end168:
	.size	_Z6kernelI14exclusive_scanILN6hipcub18BlockScanAlgorithmE0EEfLj64ELj1ELj100EEvPKT0_PS4_S4_, .Lfunc_end168-_Z6kernelI14exclusive_scanILN6hipcub18BlockScanAlgorithmE0EEfLj64ELj1ELj100EEvPKT0_PS4_S4_
                                        ; -- End function
	.section	.AMDGPU.csdata,"",@progbits
; Kernel info:
; codeLenInByte = 428
; NumSgprs: 26
; NumVgprs: 6
; NumAgprs: 0
; TotalNumVgprs: 6
; ScratchSize: 0
; MemoryBound: 0
; FloatMode: 240
; IeeeMode: 1
; LDSByteSize: 4 bytes/workgroup (compile time only)
; SGPRBlocks: 3
; VGPRBlocks: 0
; NumSGPRsForWavesPerEU: 26
; NumVGPRsForWavesPerEU: 6
; AccumOffset: 8
; Occupancy: 8
; WaveLimiterHint : 0
; COMPUTE_PGM_RSRC2:SCRATCH_EN: 0
; COMPUTE_PGM_RSRC2:USER_SGPR: 2
; COMPUTE_PGM_RSRC2:TRAP_HANDLER: 0
; COMPUTE_PGM_RSRC2:TGID_X_EN: 1
; COMPUTE_PGM_RSRC2:TGID_Y_EN: 0
; COMPUTE_PGM_RSRC2:TGID_Z_EN: 0
; COMPUTE_PGM_RSRC2:TIDIG_COMP_CNT: 0
; COMPUTE_PGM_RSRC3_GFX90A:ACCUM_OFFSET: 1
; COMPUTE_PGM_RSRC3_GFX90A:TG_SPLIT: 0
	.section	.text._Z6kernelI14exclusive_scanILN6hipcub18BlockScanAlgorithmE0EEfLj64ELj3ELj100EEvPKT0_PS4_S4_,"axG",@progbits,_Z6kernelI14exclusive_scanILN6hipcub18BlockScanAlgorithmE0EEfLj64ELj3ELj100EEvPKT0_PS4_S4_,comdat
	.protected	_Z6kernelI14exclusive_scanILN6hipcub18BlockScanAlgorithmE0EEfLj64ELj3ELj100EEvPKT0_PS4_S4_ ; -- Begin function _Z6kernelI14exclusive_scanILN6hipcub18BlockScanAlgorithmE0EEfLj64ELj3ELj100EEvPKT0_PS4_S4_
	.globl	_Z6kernelI14exclusive_scanILN6hipcub18BlockScanAlgorithmE0EEfLj64ELj3ELj100EEvPKT0_PS4_S4_
	.p2align	8
	.type	_Z6kernelI14exclusive_scanILN6hipcub18BlockScanAlgorithmE0EEfLj64ELj3ELj100EEvPKT0_PS4_S4_,@function
_Z6kernelI14exclusive_scanILN6hipcub18BlockScanAlgorithmE0EEfLj64ELj3ELj100EEvPKT0_PS4_S4_: ; @_Z6kernelI14exclusive_scanILN6hipcub18BlockScanAlgorithmE0EEfLj64ELj3ELj100EEvPKT0_PS4_S4_
; %bb.0:
	s_load_dword s3, s[0:1], 0x24
	s_load_dwordx4 s[16:19], s[0:1], 0x0
	s_load_dword s20, s[0:1], 0x10
	v_mov_b32_e32 v3, 0
	v_mov_b32_e32 v5, v3
	s_waitcnt lgkmcnt(0)
	s_and_b32 s0, s3, 0xffff
	s_mul_i32 s2, s2, s0
	v_add_u32_e32 v1, s2, v0
	v_lshl_add_u32 v2, v1, 1, v1
	v_lshl_add_u64 v[12:13], v[2:3], 2, s[16:17]
	v_add_u32_e32 v4, 1, v2
	v_add_u32_e32 v6, 2, v2
	v_mov_b32_e32 v7, v3
	v_lshl_add_u64 v[14:15], v[4:5], 2, s[16:17]
	v_lshl_add_u64 v[16:17], v[6:7], 2, s[16:17]
	global_load_dword v1, v[12:13], off
	global_load_dword v8, v[14:15], off
	;; [unrolled: 1-line block ×3, first 2 shown]
	v_mbcnt_lo_u32_b32 v9, -1, 0
	v_mbcnt_hi_u32_b32 v11, -1, v9
	v_and_b32_e32 v9, 15, v11
	v_cmp_eq_u32_e32 vcc, 0, v9
	v_cmp_lt_u32_e64 s[0:1], 1, v9
	v_cmp_lt_u32_e64 s[2:3], 3, v9
	;; [unrolled: 1-line block ×3, first 2 shown]
	v_and_b32_e32 v9, 16, v11
	v_cmp_eq_u32_e64 s[6:7], 0, v9
	v_add_u32_e32 v9, -1, v11
	v_and_b32_e32 v12, 64, v11
	v_cmp_lt_i32_e64 s[12:13], v9, v12
	v_cmp_eq_u32_e64 s[14:15], 0, v0
	v_cmp_lt_u32_e64 s[8:9], 31, v11
	v_cndmask_b32_e64 v9, v9, v11, s[12:13]
	v_cmp_eq_u32_e64 s[12:13], 0, v11
	v_cmp_eq_u32_e64 s[10:11], 63, v0
	v_lshlrev_b32_e32 v9, 2, v9
	s_or_b64 s[12:13], s[14:15], s[12:13]
	s_movk_i32 s16, 0x64
	v_mov_b32_e32 v0, s20
.LBB169_1:                              ; =>This Inner Loop Header: Depth=1
	s_waitcnt vmcnt(1)
	v_add_f32_e32 v11, v1, v8
	s_waitcnt vmcnt(0)
	v_add_f32_e32 v10, v10, v11
	s_nop 1
	v_mov_b32_dpp v11, v10 row_shr:1 row_mask:0xf bank_mask:0xf
	v_add_f32_e32 v11, v10, v11
	v_cndmask_b32_e32 v10, v11, v10, vcc
	s_nop 1
	v_mov_b32_dpp v11, v10 row_shr:2 row_mask:0xf bank_mask:0xf
	v_add_f32_e32 v11, v10, v11
	v_cndmask_b32_e64 v10, v10, v11, s[0:1]
	s_nop 1
	v_mov_b32_dpp v11, v10 row_shr:4 row_mask:0xf bank_mask:0xf
	v_add_f32_e32 v11, v10, v11
	v_cndmask_b32_e64 v10, v10, v11, s[2:3]
	;; [unrolled: 4-line block ×3, first 2 shown]
	s_nop 1
	v_mov_b32_dpp v11, v10 row_bcast:15 row_mask:0xf bank_mask:0xf
	v_add_f32_e32 v11, v10, v11
	v_cndmask_b32_e64 v10, v11, v10, s[6:7]
	s_nop 1
	v_mov_b32_dpp v11, v10 row_bcast:31 row_mask:0xf bank_mask:0xf
	v_add_f32_e32 v11, v10, v11
	v_cndmask_b32_e64 v10, v10, v11, s[8:9]
	s_and_saveexec_b64 s[14:15], s[10:11]
	s_cbranch_execz .LBB169_3
; %bb.2:                                ;   in Loop: Header=BB169_1 Depth=1
	ds_write_b32 v3, v10
.LBB169_3:                              ;   in Loop: Header=BB169_1 Depth=1
	s_or_b64 exec, exec, s[14:15]
	v_add_f32_e32 v10, s20, v10
	ds_bpermute_b32 v10, v9, v10
	s_add_i32 s16, s16, -1
	s_cmp_lg_u32 s16, 0
	s_waitcnt lgkmcnt(0)
	; wave barrier
	s_waitcnt lgkmcnt(0)
	v_cndmask_b32_e64 v12, v10, v0, s[12:13]
	v_add_f32_e32 v11, v1, v12
	v_add_f32_e32 v10, v8, v11
	s_cbranch_scc0 .LBB169_5
; %bb.4:                                ;   in Loop: Header=BB169_1 Depth=1
	v_mov_b32_e32 v1, v12
	v_mov_b32_e32 v8, v11
	s_branch .LBB169_1
.LBB169_5:
	v_lshl_add_u64 v[0:1], v[2:3], 2, s[18:19]
	global_store_dword v[0:1], v12, off
	v_lshl_add_u64 v[0:1], v[4:5], 2, s[18:19]
	global_store_dword v[0:1], v11, off
	v_lshl_add_u64 v[0:1], v[6:7], 2, s[18:19]
	global_store_dword v[0:1], v10, off
	s_endpgm
	.section	.rodata,"a",@progbits
	.p2align	6, 0x0
	.amdhsa_kernel _Z6kernelI14exclusive_scanILN6hipcub18BlockScanAlgorithmE0EEfLj64ELj3ELj100EEvPKT0_PS4_S4_
		.amdhsa_group_segment_fixed_size 4
		.amdhsa_private_segment_fixed_size 0
		.amdhsa_kernarg_size 280
		.amdhsa_user_sgpr_count 2
		.amdhsa_user_sgpr_dispatch_ptr 0
		.amdhsa_user_sgpr_queue_ptr 0
		.amdhsa_user_sgpr_kernarg_segment_ptr 1
		.amdhsa_user_sgpr_dispatch_id 0
		.amdhsa_user_sgpr_kernarg_preload_length 0
		.amdhsa_user_sgpr_kernarg_preload_offset 0
		.amdhsa_user_sgpr_private_segment_size 0
		.amdhsa_uses_dynamic_stack 0
		.amdhsa_enable_private_segment 0
		.amdhsa_system_sgpr_workgroup_id_x 1
		.amdhsa_system_sgpr_workgroup_id_y 0
		.amdhsa_system_sgpr_workgroup_id_z 0
		.amdhsa_system_sgpr_workgroup_info 0
		.amdhsa_system_vgpr_workitem_id 0
		.amdhsa_next_free_vgpr 18
		.amdhsa_next_free_sgpr 21
		.amdhsa_accum_offset 20
		.amdhsa_reserve_vcc 1
		.amdhsa_float_round_mode_32 0
		.amdhsa_float_round_mode_16_64 0
		.amdhsa_float_denorm_mode_32 3
		.amdhsa_float_denorm_mode_16_64 3
		.amdhsa_dx10_clamp 1
		.amdhsa_ieee_mode 1
		.amdhsa_fp16_overflow 0
		.amdhsa_tg_split 0
		.amdhsa_exception_fp_ieee_invalid_op 0
		.amdhsa_exception_fp_denorm_src 0
		.amdhsa_exception_fp_ieee_div_zero 0
		.amdhsa_exception_fp_ieee_overflow 0
		.amdhsa_exception_fp_ieee_underflow 0
		.amdhsa_exception_fp_ieee_inexact 0
		.amdhsa_exception_int_div_zero 0
	.end_amdhsa_kernel
	.section	.text._Z6kernelI14exclusive_scanILN6hipcub18BlockScanAlgorithmE0EEfLj64ELj3ELj100EEvPKT0_PS4_S4_,"axG",@progbits,_Z6kernelI14exclusive_scanILN6hipcub18BlockScanAlgorithmE0EEfLj64ELj3ELj100EEvPKT0_PS4_S4_,comdat
.Lfunc_end169:
	.size	_Z6kernelI14exclusive_scanILN6hipcub18BlockScanAlgorithmE0EEfLj64ELj3ELj100EEvPKT0_PS4_S4_, .Lfunc_end169-_Z6kernelI14exclusive_scanILN6hipcub18BlockScanAlgorithmE0EEfLj64ELj3ELj100EEvPKT0_PS4_S4_
                                        ; -- End function
	.section	.AMDGPU.csdata,"",@progbits
; Kernel info:
; codeLenInByte = 540
; NumSgprs: 27
; NumVgprs: 18
; NumAgprs: 0
; TotalNumVgprs: 18
; ScratchSize: 0
; MemoryBound: 0
; FloatMode: 240
; IeeeMode: 1
; LDSByteSize: 4 bytes/workgroup (compile time only)
; SGPRBlocks: 3
; VGPRBlocks: 2
; NumSGPRsForWavesPerEU: 27
; NumVGPRsForWavesPerEU: 18
; AccumOffset: 20
; Occupancy: 8
; WaveLimiterHint : 0
; COMPUTE_PGM_RSRC2:SCRATCH_EN: 0
; COMPUTE_PGM_RSRC2:USER_SGPR: 2
; COMPUTE_PGM_RSRC2:TRAP_HANDLER: 0
; COMPUTE_PGM_RSRC2:TGID_X_EN: 1
; COMPUTE_PGM_RSRC2:TGID_Y_EN: 0
; COMPUTE_PGM_RSRC2:TGID_Z_EN: 0
; COMPUTE_PGM_RSRC2:TIDIG_COMP_CNT: 0
; COMPUTE_PGM_RSRC3_GFX90A:ACCUM_OFFSET: 4
; COMPUTE_PGM_RSRC3_GFX90A:TG_SPLIT: 0
	.section	.text._Z6kernelI14exclusive_scanILN6hipcub18BlockScanAlgorithmE0EEfLj64ELj4ELj100EEvPKT0_PS4_S4_,"axG",@progbits,_Z6kernelI14exclusive_scanILN6hipcub18BlockScanAlgorithmE0EEfLj64ELj4ELj100EEvPKT0_PS4_S4_,comdat
	.protected	_Z6kernelI14exclusive_scanILN6hipcub18BlockScanAlgorithmE0EEfLj64ELj4ELj100EEvPKT0_PS4_S4_ ; -- Begin function _Z6kernelI14exclusive_scanILN6hipcub18BlockScanAlgorithmE0EEfLj64ELj4ELj100EEvPKT0_PS4_S4_
	.globl	_Z6kernelI14exclusive_scanILN6hipcub18BlockScanAlgorithmE0EEfLj64ELj4ELj100EEvPKT0_PS4_S4_
	.p2align	8
	.type	_Z6kernelI14exclusive_scanILN6hipcub18BlockScanAlgorithmE0EEfLj64ELj4ELj100EEvPKT0_PS4_S4_,@function
_Z6kernelI14exclusive_scanILN6hipcub18BlockScanAlgorithmE0EEfLj64ELj4ELj100EEvPKT0_PS4_S4_: ; @_Z6kernelI14exclusive_scanILN6hipcub18BlockScanAlgorithmE0EEfLj64ELj4ELj100EEvPKT0_PS4_S4_
; %bb.0:
	s_load_dwordx4 s[16:19], s[0:1], 0x0
	s_load_dword s3, s[0:1], 0x24
	s_load_dword s20, s[0:1], 0x10
	v_mov_b32_e32 v11, 0
	v_mbcnt_lo_u32_b32 v1, -1, 0
	s_waitcnt lgkmcnt(0)
	v_mov_b32_e32 v2, s16
	s_and_b32 s0, s3, 0xffff
	s_mul_i32 s2, s2, s0
	v_mov_b32_e32 v3, s17
	v_add_lshl_u32 v10, s2, v0, 2
	v_lshl_add_u64 v[2:3], v[10:11], 2, v[2:3]
	global_load_dwordx4 v[2:5], v[2:3], off
	v_mbcnt_hi_u32_b32 v6, -1, v1
	v_and_b32_e32 v1, 15, v6
	v_cmp_eq_u32_e32 vcc, 0, v1
	v_cmp_lt_u32_e64 s[0:1], 1, v1
	v_cmp_lt_u32_e64 s[2:3], 3, v1
	v_cmp_lt_u32_e64 s[4:5], 7, v1
	v_and_b32_e32 v1, 16, v6
	v_cmp_eq_u32_e64 s[6:7], 0, v1
	v_add_u32_e32 v1, -1, v6
	v_and_b32_e32 v7, 64, v6
	v_cmp_lt_i32_e64 s[12:13], v1, v7
	v_cmp_eq_u32_e64 s[14:15], 0, v0
	v_cmp_lt_u32_e64 s[8:9], 31, v6
	v_cndmask_b32_e64 v1, v1, v6, s[12:13]
	v_cmp_eq_u32_e64 s[12:13], 0, v6
	v_cmp_eq_u32_e64 s[10:11], 63, v0
	v_lshlrev_b32_e32 v1, 2, v1
	s_or_b64 s[12:13], s[14:15], s[12:13]
	s_movk_i32 s16, 0x64
	v_mov_b32_e32 v0, s20
.LBB170_1:                              ; =>This Inner Loop Header: Depth=1
	s_waitcnt vmcnt(0)
	v_add_f32_e32 v6, v2, v3
	v_add_f32_e32 v6, v4, v6
	;; [unrolled: 1-line block ×3, first 2 shown]
	s_nop 1
	v_mov_b32_dpp v6, v5 row_shr:1 row_mask:0xf bank_mask:0xf
	v_add_f32_e32 v6, v5, v6
	v_cndmask_b32_e32 v5, v6, v5, vcc
	s_nop 1
	v_mov_b32_dpp v6, v5 row_shr:2 row_mask:0xf bank_mask:0xf
	v_add_f32_e32 v6, v5, v6
	v_cndmask_b32_e64 v5, v5, v6, s[0:1]
	s_nop 1
	v_mov_b32_dpp v6, v5 row_shr:4 row_mask:0xf bank_mask:0xf
	v_add_f32_e32 v6, v5, v6
	v_cndmask_b32_e64 v5, v5, v6, s[2:3]
	;; [unrolled: 4-line block ×3, first 2 shown]
	s_nop 1
	v_mov_b32_dpp v6, v5 row_bcast:15 row_mask:0xf bank_mask:0xf
	v_add_f32_e32 v6, v5, v6
	v_cndmask_b32_e64 v5, v6, v5, s[6:7]
	s_nop 1
	v_mov_b32_dpp v6, v5 row_bcast:31 row_mask:0xf bank_mask:0xf
	v_add_f32_e32 v6, v5, v6
	v_cndmask_b32_e64 v5, v5, v6, s[8:9]
	s_and_saveexec_b64 s[14:15], s[10:11]
	s_cbranch_execz .LBB170_3
; %bb.2:                                ;   in Loop: Header=BB170_1 Depth=1
	ds_write_b32 v11, v5
.LBB170_3:                              ;   in Loop: Header=BB170_1 Depth=1
	s_or_b64 exec, exec, s[14:15]
	v_add_f32_e32 v5, s20, v5
	ds_bpermute_b32 v5, v1, v5
	s_add_i32 s16, s16, -1
	s_cmp_lg_u32 s16, 0
	s_waitcnt lgkmcnt(0)
	; wave barrier
	s_waitcnt lgkmcnt(0)
	v_cndmask_b32_e64 v6, v5, v0, s[12:13]
	v_add_f32_e32 v7, v2, v6
	v_add_f32_e32 v8, v3, v7
	;; [unrolled: 1-line block ×3, first 2 shown]
	s_cbranch_scc0 .LBB170_5
; %bb.4:                                ;   in Loop: Header=BB170_1 Depth=1
	v_mov_b32_e32 v2, v6
	v_mov_b32_e32 v3, v7
	;; [unrolled: 1-line block ×3, first 2 shown]
	s_branch .LBB170_1
.LBB170_5:
	v_mov_b32_e32 v0, s18
	v_mov_b32_e32 v1, s19
	v_lshl_add_u64 v[0:1], v[10:11], 2, v[0:1]
	v_mov_b32_e32 v9, v5
	global_store_dwordx4 v[0:1], v[6:9], off
	s_endpgm
	.section	.rodata,"a",@progbits
	.p2align	6, 0x0
	.amdhsa_kernel _Z6kernelI14exclusive_scanILN6hipcub18BlockScanAlgorithmE0EEfLj64ELj4ELj100EEvPKT0_PS4_S4_
		.amdhsa_group_segment_fixed_size 4
		.amdhsa_private_segment_fixed_size 0
		.amdhsa_kernarg_size 280
		.amdhsa_user_sgpr_count 2
		.amdhsa_user_sgpr_dispatch_ptr 0
		.amdhsa_user_sgpr_queue_ptr 0
		.amdhsa_user_sgpr_kernarg_segment_ptr 1
		.amdhsa_user_sgpr_dispatch_id 0
		.amdhsa_user_sgpr_kernarg_preload_length 0
		.amdhsa_user_sgpr_kernarg_preload_offset 0
		.amdhsa_user_sgpr_private_segment_size 0
		.amdhsa_uses_dynamic_stack 0
		.amdhsa_enable_private_segment 0
		.amdhsa_system_sgpr_workgroup_id_x 1
		.amdhsa_system_sgpr_workgroup_id_y 0
		.amdhsa_system_sgpr_workgroup_id_z 0
		.amdhsa_system_sgpr_workgroup_info 0
		.amdhsa_system_vgpr_workitem_id 0
		.amdhsa_next_free_vgpr 12
		.amdhsa_next_free_sgpr 21
		.amdhsa_accum_offset 12
		.amdhsa_reserve_vcc 1
		.amdhsa_float_round_mode_32 0
		.amdhsa_float_round_mode_16_64 0
		.amdhsa_float_denorm_mode_32 3
		.amdhsa_float_denorm_mode_16_64 3
		.amdhsa_dx10_clamp 1
		.amdhsa_ieee_mode 1
		.amdhsa_fp16_overflow 0
		.amdhsa_tg_split 0
		.amdhsa_exception_fp_ieee_invalid_op 0
		.amdhsa_exception_fp_denorm_src 0
		.amdhsa_exception_fp_ieee_div_zero 0
		.amdhsa_exception_fp_ieee_overflow 0
		.amdhsa_exception_fp_ieee_underflow 0
		.amdhsa_exception_fp_ieee_inexact 0
		.amdhsa_exception_int_div_zero 0
	.end_amdhsa_kernel
	.section	.text._Z6kernelI14exclusive_scanILN6hipcub18BlockScanAlgorithmE0EEfLj64ELj4ELj100EEvPKT0_PS4_S4_,"axG",@progbits,_Z6kernelI14exclusive_scanILN6hipcub18BlockScanAlgorithmE0EEfLj64ELj4ELj100EEvPKT0_PS4_S4_,comdat
.Lfunc_end170:
	.size	_Z6kernelI14exclusive_scanILN6hipcub18BlockScanAlgorithmE0EEfLj64ELj4ELj100EEvPKT0_PS4_S4_, .Lfunc_end170-_Z6kernelI14exclusive_scanILN6hipcub18BlockScanAlgorithmE0EEfLj64ELj4ELj100EEvPKT0_PS4_S4_
                                        ; -- End function
	.section	.AMDGPU.csdata,"",@progbits
; Kernel info:
; codeLenInByte = 484
; NumSgprs: 27
; NumVgprs: 12
; NumAgprs: 0
; TotalNumVgprs: 12
; ScratchSize: 0
; MemoryBound: 0
; FloatMode: 240
; IeeeMode: 1
; LDSByteSize: 4 bytes/workgroup (compile time only)
; SGPRBlocks: 3
; VGPRBlocks: 1
; NumSGPRsForWavesPerEU: 27
; NumVGPRsForWavesPerEU: 12
; AccumOffset: 12
; Occupancy: 8
; WaveLimiterHint : 0
; COMPUTE_PGM_RSRC2:SCRATCH_EN: 0
; COMPUTE_PGM_RSRC2:USER_SGPR: 2
; COMPUTE_PGM_RSRC2:TRAP_HANDLER: 0
; COMPUTE_PGM_RSRC2:TGID_X_EN: 1
; COMPUTE_PGM_RSRC2:TGID_Y_EN: 0
; COMPUTE_PGM_RSRC2:TGID_Z_EN: 0
; COMPUTE_PGM_RSRC2:TIDIG_COMP_CNT: 0
; COMPUTE_PGM_RSRC3_GFX90A:ACCUM_OFFSET: 2
; COMPUTE_PGM_RSRC3_GFX90A:TG_SPLIT: 0
	.section	.text._Z6kernelI14exclusive_scanILN6hipcub18BlockScanAlgorithmE0EEfLj64ELj8ELj100EEvPKT0_PS4_S4_,"axG",@progbits,_Z6kernelI14exclusive_scanILN6hipcub18BlockScanAlgorithmE0EEfLj64ELj8ELj100EEvPKT0_PS4_S4_,comdat
	.protected	_Z6kernelI14exclusive_scanILN6hipcub18BlockScanAlgorithmE0EEfLj64ELj8ELj100EEvPKT0_PS4_S4_ ; -- Begin function _Z6kernelI14exclusive_scanILN6hipcub18BlockScanAlgorithmE0EEfLj64ELj8ELj100EEvPKT0_PS4_S4_
	.globl	_Z6kernelI14exclusive_scanILN6hipcub18BlockScanAlgorithmE0EEfLj64ELj8ELj100EEvPKT0_PS4_S4_
	.p2align	8
	.type	_Z6kernelI14exclusive_scanILN6hipcub18BlockScanAlgorithmE0EEfLj64ELj8ELj100EEvPKT0_PS4_S4_,@function
_Z6kernelI14exclusive_scanILN6hipcub18BlockScanAlgorithmE0EEfLj64ELj8ELj100EEvPKT0_PS4_S4_: ; @_Z6kernelI14exclusive_scanILN6hipcub18BlockScanAlgorithmE0EEfLj64ELj8ELj100EEvPKT0_PS4_S4_
; %bb.0:
	s_load_dwordx4 s[16:19], s[0:1], 0x0
	s_load_dword s3, s[0:1], 0x24
	s_load_dword s20, s[0:1], 0x10
	v_mov_b32_e32 v19, 0
	v_mbcnt_lo_u32_b32 v1, -1, 0
	s_waitcnt lgkmcnt(0)
	v_mov_b32_e32 v2, s16
	s_and_b32 s0, s3, 0xffff
	s_mul_i32 s2, s2, s0
	v_mov_b32_e32 v3, s17
	v_add_lshl_u32 v18, s2, v0, 3
	v_lshl_add_u64 v[10:11], v[18:19], 2, v[2:3]
	global_load_dwordx4 v[6:9], v[10:11], off
	global_load_dwordx4 v[2:5], v[10:11], off offset:16
	v_mbcnt_hi_u32_b32 v10, -1, v1
	v_and_b32_e32 v1, 15, v10
	v_cmp_eq_u32_e32 vcc, 0, v1
	v_cmp_lt_u32_e64 s[0:1], 1, v1
	v_cmp_lt_u32_e64 s[2:3], 3, v1
	;; [unrolled: 1-line block ×3, first 2 shown]
	v_and_b32_e32 v1, 16, v10
	v_cmp_eq_u32_e64 s[6:7], 0, v1
	v_add_u32_e32 v1, -1, v10
	v_and_b32_e32 v11, 64, v10
	v_cmp_lt_i32_e64 s[12:13], v1, v11
	v_cmp_eq_u32_e64 s[14:15], 0, v0
	v_cmp_lt_u32_e64 s[8:9], 31, v10
	v_cndmask_b32_e64 v1, v1, v10, s[12:13]
	v_cmp_eq_u32_e64 s[12:13], 0, v10
	v_cmp_eq_u32_e64 s[10:11], 63, v0
	v_lshlrev_b32_e32 v1, 2, v1
	s_or_b64 s[12:13], s[14:15], s[12:13]
	s_movk_i32 s16, 0x64
	v_mov_b32_e32 v0, s20
.LBB171_1:                              ; =>This Inner Loop Header: Depth=1
	s_waitcnt vmcnt(1)
	v_add_f32_e32 v10, v6, v7
	v_add_f32_e32 v10, v8, v10
	;; [unrolled: 1-line block ×3, first 2 shown]
	s_waitcnt vmcnt(0)
	v_add_f32_e32 v10, v2, v10
	v_add_f32_e32 v10, v3, v10
	;; [unrolled: 1-line block ×4, first 2 shown]
	s_nop 1
	v_mov_b32_dpp v10, v5 row_shr:1 row_mask:0xf bank_mask:0xf
	v_add_f32_e32 v10, v5, v10
	v_cndmask_b32_e32 v5, v10, v5, vcc
	s_nop 1
	v_mov_b32_dpp v10, v5 row_shr:2 row_mask:0xf bank_mask:0xf
	v_add_f32_e32 v10, v5, v10
	v_cndmask_b32_e64 v5, v5, v10, s[0:1]
	s_nop 1
	v_mov_b32_dpp v10, v5 row_shr:4 row_mask:0xf bank_mask:0xf
	v_add_f32_e32 v10, v5, v10
	v_cndmask_b32_e64 v5, v5, v10, s[2:3]
	;; [unrolled: 4-line block ×3, first 2 shown]
	s_nop 1
	v_mov_b32_dpp v10, v5 row_bcast:15 row_mask:0xf bank_mask:0xf
	v_add_f32_e32 v10, v5, v10
	v_cndmask_b32_e64 v5, v10, v5, s[6:7]
	s_nop 1
	v_mov_b32_dpp v10, v5 row_bcast:31 row_mask:0xf bank_mask:0xf
	v_add_f32_e32 v10, v5, v10
	v_cndmask_b32_e64 v5, v5, v10, s[8:9]
	s_and_saveexec_b64 s[14:15], s[10:11]
	s_cbranch_execz .LBB171_3
; %bb.2:                                ;   in Loop: Header=BB171_1 Depth=1
	ds_write_b32 v19, v5
.LBB171_3:                              ;   in Loop: Header=BB171_1 Depth=1
	s_or_b64 exec, exec, s[14:15]
	v_add_f32_e32 v5, s20, v5
	ds_bpermute_b32 v5, v1, v5
	s_add_i32 s16, s16, -1
	s_cmp_lg_u32 s16, 0
	s_waitcnt lgkmcnt(0)
	; wave barrier
	s_waitcnt lgkmcnt(0)
	v_cndmask_b32_e64 v14, v5, v0, s[12:13]
	v_add_f32_e32 v15, v6, v14
	v_add_f32_e32 v16, v7, v15
	;; [unrolled: 1-line block ×7, first 2 shown]
	s_cbranch_scc0 .LBB171_5
; %bb.4:                                ;   in Loop: Header=BB171_1 Depth=1
	v_mov_b32_e32 v6, v14
	v_mov_b32_e32 v7, v15
	;; [unrolled: 1-line block ×7, first 2 shown]
	s_branch .LBB171_1
.LBB171_5:
	v_mov_b32_e32 v0, s18
	v_mov_b32_e32 v1, s19
	v_lshl_add_u64 v[0:1], v[18:19], 2, v[0:1]
	global_store_dwordx3 v[0:1], v[14:16], off
	global_store_dwordx4 v[0:1], v[10:13], off offset:12
	global_store_dword v[0:1], v5, off offset:28
	s_endpgm
	.section	.rodata,"a",@progbits
	.p2align	6, 0x0
	.amdhsa_kernel _Z6kernelI14exclusive_scanILN6hipcub18BlockScanAlgorithmE0EEfLj64ELj8ELj100EEvPKT0_PS4_S4_
		.amdhsa_group_segment_fixed_size 4
		.amdhsa_private_segment_fixed_size 0
		.amdhsa_kernarg_size 280
		.amdhsa_user_sgpr_count 2
		.amdhsa_user_sgpr_dispatch_ptr 0
		.amdhsa_user_sgpr_queue_ptr 0
		.amdhsa_user_sgpr_kernarg_segment_ptr 1
		.amdhsa_user_sgpr_dispatch_id 0
		.amdhsa_user_sgpr_kernarg_preload_length 0
		.amdhsa_user_sgpr_kernarg_preload_offset 0
		.amdhsa_user_sgpr_private_segment_size 0
		.amdhsa_uses_dynamic_stack 0
		.amdhsa_enable_private_segment 0
		.amdhsa_system_sgpr_workgroup_id_x 1
		.amdhsa_system_sgpr_workgroup_id_y 0
		.amdhsa_system_sgpr_workgroup_id_z 0
		.amdhsa_system_sgpr_workgroup_info 0
		.amdhsa_system_vgpr_workitem_id 0
		.amdhsa_next_free_vgpr 20
		.amdhsa_next_free_sgpr 21
		.amdhsa_accum_offset 20
		.amdhsa_reserve_vcc 1
		.amdhsa_float_round_mode_32 0
		.amdhsa_float_round_mode_16_64 0
		.amdhsa_float_denorm_mode_32 3
		.amdhsa_float_denorm_mode_16_64 3
		.amdhsa_dx10_clamp 1
		.amdhsa_ieee_mode 1
		.amdhsa_fp16_overflow 0
		.amdhsa_tg_split 0
		.amdhsa_exception_fp_ieee_invalid_op 0
		.amdhsa_exception_fp_denorm_src 0
		.amdhsa_exception_fp_ieee_div_zero 0
		.amdhsa_exception_fp_ieee_overflow 0
		.amdhsa_exception_fp_ieee_underflow 0
		.amdhsa_exception_fp_ieee_inexact 0
		.amdhsa_exception_int_div_zero 0
	.end_amdhsa_kernel
	.section	.text._Z6kernelI14exclusive_scanILN6hipcub18BlockScanAlgorithmE0EEfLj64ELj8ELj100EEvPKT0_PS4_S4_,"axG",@progbits,_Z6kernelI14exclusive_scanILN6hipcub18BlockScanAlgorithmE0EEfLj64ELj8ELj100EEvPKT0_PS4_S4_,comdat
.Lfunc_end171:
	.size	_Z6kernelI14exclusive_scanILN6hipcub18BlockScanAlgorithmE0EEfLj64ELj8ELj100EEvPKT0_PS4_S4_, .Lfunc_end171-_Z6kernelI14exclusive_scanILN6hipcub18BlockScanAlgorithmE0EEfLj64ELj8ELj100EEvPKT0_PS4_S4_
                                        ; -- End function
	.section	.AMDGPU.csdata,"",@progbits
; Kernel info:
; codeLenInByte = 556
; NumSgprs: 27
; NumVgprs: 20
; NumAgprs: 0
; TotalNumVgprs: 20
; ScratchSize: 0
; MemoryBound: 0
; FloatMode: 240
; IeeeMode: 1
; LDSByteSize: 4 bytes/workgroup (compile time only)
; SGPRBlocks: 3
; VGPRBlocks: 2
; NumSGPRsForWavesPerEU: 27
; NumVGPRsForWavesPerEU: 20
; AccumOffset: 20
; Occupancy: 8
; WaveLimiterHint : 0
; COMPUTE_PGM_RSRC2:SCRATCH_EN: 0
; COMPUTE_PGM_RSRC2:USER_SGPR: 2
; COMPUTE_PGM_RSRC2:TRAP_HANDLER: 0
; COMPUTE_PGM_RSRC2:TGID_X_EN: 1
; COMPUTE_PGM_RSRC2:TGID_Y_EN: 0
; COMPUTE_PGM_RSRC2:TGID_Z_EN: 0
; COMPUTE_PGM_RSRC2:TIDIG_COMP_CNT: 0
; COMPUTE_PGM_RSRC3_GFX90A:ACCUM_OFFSET: 4
; COMPUTE_PGM_RSRC3_GFX90A:TG_SPLIT: 0
	.section	.text._Z6kernelI14exclusive_scanILN6hipcub18BlockScanAlgorithmE0EEfLj64ELj11ELj100EEvPKT0_PS4_S4_,"axG",@progbits,_Z6kernelI14exclusive_scanILN6hipcub18BlockScanAlgorithmE0EEfLj64ELj11ELj100EEvPKT0_PS4_S4_,comdat
	.protected	_Z6kernelI14exclusive_scanILN6hipcub18BlockScanAlgorithmE0EEfLj64ELj11ELj100EEvPKT0_PS4_S4_ ; -- Begin function _Z6kernelI14exclusive_scanILN6hipcub18BlockScanAlgorithmE0EEfLj64ELj11ELj100EEvPKT0_PS4_S4_
	.globl	_Z6kernelI14exclusive_scanILN6hipcub18BlockScanAlgorithmE0EEfLj64ELj11ELj100EEvPKT0_PS4_S4_
	.p2align	8
	.type	_Z6kernelI14exclusive_scanILN6hipcub18BlockScanAlgorithmE0EEfLj64ELj11ELj100EEvPKT0_PS4_S4_,@function
_Z6kernelI14exclusive_scanILN6hipcub18BlockScanAlgorithmE0EEfLj64ELj11ELj100EEvPKT0_PS4_S4_: ; @_Z6kernelI14exclusive_scanILN6hipcub18BlockScanAlgorithmE0EEfLj64ELj11ELj100EEvPKT0_PS4_S4_
; %bb.0:
	s_load_dword s3, s[0:1], 0x24
	s_load_dwordx4 s[16:19], s[0:1], 0x0
	s_load_dword s20, s[0:1], 0x10
	v_mov_b32_e32 v3, 0
	v_mov_b32_e32 v5, v3
	s_waitcnt lgkmcnt(0)
	s_and_b32 s0, s3, 0xffff
	s_mul_i32 s2, s2, s0
	v_add_u32_e32 v1, s2, v0
	v_mul_lo_u32 v2, v1, 11
	v_lshl_add_u64 v[18:19], v[2:3], 2, s[16:17]
	v_add_u32_e32 v4, 1, v2
	v_add_u32_e32 v6, 2, v2
	v_mov_b32_e32 v7, v3
	v_add_u32_e32 v8, 3, v2
	v_mov_b32_e32 v9, v3
	;; [unrolled: 2-line block ×6, first 2 shown]
	v_lshl_add_u64 v[20:21], v[4:5], 2, s[16:17]
	v_lshl_add_u64 v[22:23], v[6:7], 2, s[16:17]
	;; [unrolled: 1-line block ×7, first 2 shown]
	global_load_dword v30, v[18:19], off
	global_load_dword v29, v[20:21], off
	;; [unrolled: 1-line block ×8, first 2 shown]
	v_add_u32_e32 v18, 8, v2
	v_mov_b32_e32 v19, v3
	v_lshl_add_u64 v[36:37], v[18:19], 2, s[16:17]
	v_add_u32_e32 v20, 9, v2
	v_mov_b32_e32 v21, v3
	v_add_u32_e32 v22, 10, v2
	v_mov_b32_e32 v23, v3
	v_lshl_add_u64 v[38:39], v[20:21], 2, s[16:17]
	v_lshl_add_u64 v[40:41], v[22:23], 2, s[16:17]
	global_load_dword v32, v[36:37], off
	global_load_dword v31, v[38:39], off
	;; [unrolled: 1-line block ×3, first 2 shown]
	v_mbcnt_lo_u32_b32 v33, -1, 0
	v_mbcnt_hi_u32_b32 v35, -1, v33
	v_and_b32_e32 v33, 15, v35
	v_cmp_eq_u32_e32 vcc, 0, v33
	v_cmp_lt_u32_e64 s[0:1], 1, v33
	v_cmp_lt_u32_e64 s[2:3], 3, v33
	v_cmp_lt_u32_e64 s[4:5], 7, v33
	v_and_b32_e32 v33, 16, v35
	v_cmp_eq_u32_e64 s[6:7], 0, v33
	v_add_u32_e32 v33, -1, v35
	v_and_b32_e32 v36, 64, v35
	v_cmp_lt_i32_e64 s[12:13], v33, v36
	v_cmp_eq_u32_e64 s[14:15], 0, v0
	v_cmp_lt_u32_e64 s[8:9], 31, v35
	v_cndmask_b32_e64 v33, v33, v35, s[12:13]
	v_cmp_eq_u32_e64 s[12:13], 0, v35
	v_cmp_eq_u32_e64 s[10:11], 63, v0
	v_lshlrev_b32_e32 v33, 2, v33
	s_or_b64 s[12:13], s[14:15], s[12:13]
	s_movk_i32 s16, 0x64
	v_mov_b32_e32 v0, s20
.LBB172_1:                              ; =>This Inner Loop Header: Depth=1
	s_waitcnt vmcnt(9)
	v_add_f32_e32 v35, v29, v30
	s_waitcnt vmcnt(8)
	v_add_f32_e32 v35, v28, v35
	;; [unrolled: 2-line block ×10, first 2 shown]
	s_nop 1
	v_mov_b32_dpp v35, v34 row_shr:1 row_mask:0xf bank_mask:0xf
	v_add_f32_e32 v35, v34, v35
	v_cndmask_b32_e32 v34, v35, v34, vcc
	s_nop 1
	v_mov_b32_dpp v35, v34 row_shr:2 row_mask:0xf bank_mask:0xf
	v_add_f32_e32 v35, v34, v35
	v_cndmask_b32_e64 v34, v34, v35, s[0:1]
	s_nop 1
	v_mov_b32_dpp v35, v34 row_shr:4 row_mask:0xf bank_mask:0xf
	v_add_f32_e32 v35, v34, v35
	v_cndmask_b32_e64 v34, v34, v35, s[2:3]
	;; [unrolled: 4-line block ×3, first 2 shown]
	s_nop 1
	v_mov_b32_dpp v35, v34 row_bcast:15 row_mask:0xf bank_mask:0xf
	v_add_f32_e32 v35, v34, v35
	v_cndmask_b32_e64 v34, v35, v34, s[6:7]
	s_nop 1
	v_mov_b32_dpp v35, v34 row_bcast:31 row_mask:0xf bank_mask:0xf
	v_add_f32_e32 v35, v34, v35
	v_cndmask_b32_e64 v34, v34, v35, s[8:9]
	s_and_saveexec_b64 s[14:15], s[10:11]
	s_cbranch_execz .LBB172_3
; %bb.2:                                ;   in Loop: Header=BB172_1 Depth=1
	ds_write_b32 v3, v34
.LBB172_3:                              ;   in Loop: Header=BB172_1 Depth=1
	s_or_b64 exec, exec, s[14:15]
	v_add_f32_e32 v34, s20, v34
	ds_bpermute_b32 v34, v33, v34
	s_add_i32 s16, s16, -1
	s_cmp_lg_u32 s16, 0
	s_waitcnt lgkmcnt(0)
	; wave barrier
	s_waitcnt lgkmcnt(0)
	v_cndmask_b32_e64 v35, v34, v0, s[12:13]
	v_add_f32_e32 v30, v30, v35
	v_add_f32_e32 v29, v29, v30
	;; [unrolled: 1-line block ×10, first 2 shown]
	s_cbranch_scc0 .LBB172_5
; %bb.4:                                ;   in Loop: Header=BB172_1 Depth=1
	v_mov_b32_e32 v31, v32
	v_mov_b32_e32 v32, v1
	;; [unrolled: 1-line block ×10, first 2 shown]
	s_branch .LBB172_1
.LBB172_5:
	v_lshl_add_u64 v[2:3], v[2:3], 2, s[18:19]
	global_store_dword v[2:3], v35, off
	v_lshl_add_u64 v[2:3], v[4:5], 2, s[18:19]
	global_store_dword v[2:3], v30, off
	;; [unrolled: 2-line block ×11, first 2 shown]
	s_endpgm
	.section	.rodata,"a",@progbits
	.p2align	6, 0x0
	.amdhsa_kernel _Z6kernelI14exclusive_scanILN6hipcub18BlockScanAlgorithmE0EEfLj64ELj11ELj100EEvPKT0_PS4_S4_
		.amdhsa_group_segment_fixed_size 4
		.amdhsa_private_segment_fixed_size 0
		.amdhsa_kernarg_size 280
		.amdhsa_user_sgpr_count 2
		.amdhsa_user_sgpr_dispatch_ptr 0
		.amdhsa_user_sgpr_queue_ptr 0
		.amdhsa_user_sgpr_kernarg_segment_ptr 1
		.amdhsa_user_sgpr_dispatch_id 0
		.amdhsa_user_sgpr_kernarg_preload_length 0
		.amdhsa_user_sgpr_kernarg_preload_offset 0
		.amdhsa_user_sgpr_private_segment_size 0
		.amdhsa_uses_dynamic_stack 0
		.amdhsa_enable_private_segment 0
		.amdhsa_system_sgpr_workgroup_id_x 1
		.amdhsa_system_sgpr_workgroup_id_y 0
		.amdhsa_system_sgpr_workgroup_id_z 0
		.amdhsa_system_sgpr_workgroup_info 0
		.amdhsa_system_vgpr_workitem_id 0
		.amdhsa_next_free_vgpr 42
		.amdhsa_next_free_sgpr 21
		.amdhsa_accum_offset 44
		.amdhsa_reserve_vcc 1
		.amdhsa_float_round_mode_32 0
		.amdhsa_float_round_mode_16_64 0
		.amdhsa_float_denorm_mode_32 3
		.amdhsa_float_denorm_mode_16_64 3
		.amdhsa_dx10_clamp 1
		.amdhsa_ieee_mode 1
		.amdhsa_fp16_overflow 0
		.amdhsa_tg_split 0
		.amdhsa_exception_fp_ieee_invalid_op 0
		.amdhsa_exception_fp_denorm_src 0
		.amdhsa_exception_fp_ieee_div_zero 0
		.amdhsa_exception_fp_ieee_overflow 0
		.amdhsa_exception_fp_ieee_underflow 0
		.amdhsa_exception_fp_ieee_inexact 0
		.amdhsa_exception_int_div_zero 0
	.end_amdhsa_kernel
	.section	.text._Z6kernelI14exclusive_scanILN6hipcub18BlockScanAlgorithmE0EEfLj64ELj11ELj100EEvPKT0_PS4_S4_,"axG",@progbits,_Z6kernelI14exclusive_scanILN6hipcub18BlockScanAlgorithmE0EEfLj64ELj11ELj100EEvPKT0_PS4_S4_,comdat
.Lfunc_end172:
	.size	_Z6kernelI14exclusive_scanILN6hipcub18BlockScanAlgorithmE0EEfLj64ELj11ELj100EEvPKT0_PS4_S4_, .Lfunc_end172-_Z6kernelI14exclusive_scanILN6hipcub18BlockScanAlgorithmE0EEfLj64ELj11ELj100EEvPKT0_PS4_S4_
                                        ; -- End function
	.section	.AMDGPU.csdata,"",@progbits
; Kernel info:
; codeLenInByte = 988
; NumSgprs: 27
; NumVgprs: 42
; NumAgprs: 0
; TotalNumVgprs: 42
; ScratchSize: 0
; MemoryBound: 0
; FloatMode: 240
; IeeeMode: 1
; LDSByteSize: 4 bytes/workgroup (compile time only)
; SGPRBlocks: 3
; VGPRBlocks: 5
; NumSGPRsForWavesPerEU: 27
; NumVGPRsForWavesPerEU: 42
; AccumOffset: 44
; Occupancy: 8
; WaveLimiterHint : 0
; COMPUTE_PGM_RSRC2:SCRATCH_EN: 0
; COMPUTE_PGM_RSRC2:USER_SGPR: 2
; COMPUTE_PGM_RSRC2:TRAP_HANDLER: 0
; COMPUTE_PGM_RSRC2:TGID_X_EN: 1
; COMPUTE_PGM_RSRC2:TGID_Y_EN: 0
; COMPUTE_PGM_RSRC2:TGID_Z_EN: 0
; COMPUTE_PGM_RSRC2:TIDIG_COMP_CNT: 0
; COMPUTE_PGM_RSRC3_GFX90A:ACCUM_OFFSET: 10
; COMPUTE_PGM_RSRC3_GFX90A:TG_SPLIT: 0
	.section	.text._Z6kernelI14exclusive_scanILN6hipcub18BlockScanAlgorithmE0EEfLj64ELj16ELj100EEvPKT0_PS4_S4_,"axG",@progbits,_Z6kernelI14exclusive_scanILN6hipcub18BlockScanAlgorithmE0EEfLj64ELj16ELj100EEvPKT0_PS4_S4_,comdat
	.protected	_Z6kernelI14exclusive_scanILN6hipcub18BlockScanAlgorithmE0EEfLj64ELj16ELj100EEvPKT0_PS4_S4_ ; -- Begin function _Z6kernelI14exclusive_scanILN6hipcub18BlockScanAlgorithmE0EEfLj64ELj16ELj100EEvPKT0_PS4_S4_
	.globl	_Z6kernelI14exclusive_scanILN6hipcub18BlockScanAlgorithmE0EEfLj64ELj16ELj100EEvPKT0_PS4_S4_
	.p2align	8
	.type	_Z6kernelI14exclusive_scanILN6hipcub18BlockScanAlgorithmE0EEfLj64ELj16ELj100EEvPKT0_PS4_S4_,@function
_Z6kernelI14exclusive_scanILN6hipcub18BlockScanAlgorithmE0EEfLj64ELj16ELj100EEvPKT0_PS4_S4_: ; @_Z6kernelI14exclusive_scanILN6hipcub18BlockScanAlgorithmE0EEfLj64ELj16ELj100EEvPKT0_PS4_S4_
; %bb.0:
	s_load_dwordx4 s[16:19], s[0:1], 0x0
	s_load_dword s3, s[0:1], 0x24
	s_load_dword s20, s[0:1], 0x10
	v_mov_b32_e32 v27, 0
	v_mbcnt_lo_u32_b32 v1, -1, 0
	s_waitcnt lgkmcnt(0)
	v_mov_b32_e32 v2, s16
	s_and_b32 s0, s3, 0xffff
	s_mul_i32 s2, s2, s0
	v_mov_b32_e32 v3, s17
	v_add_lshl_u32 v26, s2, v0, 4
	v_lshl_add_u64 v[18:19], v[26:27], 2, v[2:3]
	global_load_dwordx4 v[2:5], v[18:19], off offset:48
	global_load_dwordx4 v[6:9], v[18:19], off offset:32
	global_load_dwordx4 v[10:13], v[18:19], off
	global_load_dwordx4 v[14:17], v[18:19], off offset:16
	v_mbcnt_hi_u32_b32 v1, -1, v1
	v_and_b32_e32 v18, 15, v1
	v_cmp_eq_u32_e32 vcc, 0, v18
	v_cmp_lt_u32_e64 s[0:1], 1, v18
	v_cmp_lt_u32_e64 s[2:3], 3, v18
	;; [unrolled: 1-line block ×3, first 2 shown]
	v_and_b32_e32 v18, 16, v1
	v_cmp_eq_u32_e64 s[6:7], 0, v18
	v_add_u32_e32 v18, -1, v1
	v_and_b32_e32 v19, 64, v1
	v_cmp_lt_i32_e64 s[12:13], v18, v19
	v_cmp_eq_u32_e64 s[14:15], 0, v0
	v_cmp_lt_u32_e64 s[8:9], 31, v1
	v_cndmask_b32_e64 v18, v18, v1, s[12:13]
	v_cmp_eq_u32_e64 s[12:13], 0, v1
	v_cmp_eq_u32_e64 s[10:11], 63, v0
	v_lshlrev_b32_e32 v28, 2, v18
	s_or_b64 s[12:13], s[14:15], s[12:13]
	s_movk_i32 s16, 0x64
.LBB173_1:                              ; =>This Inner Loop Header: Depth=1
	s_waitcnt vmcnt(1)
	v_add_f32_e32 v0, v11, v10
	v_add_f32_e32 v0, v12, v0
	;; [unrolled: 1-line block ×3, first 2 shown]
	s_waitcnt vmcnt(0)
	v_add_f32_e32 v0, v14, v0
	v_add_f32_e32 v0, v15, v0
	;; [unrolled: 1-line block ×12, first 2 shown]
	s_nop 1
	v_mov_b32_dpp v1, v0 row_shr:1 row_mask:0xf bank_mask:0xf
	v_add_f32_e32 v1, v0, v1
	v_cndmask_b32_e32 v0, v1, v0, vcc
	s_nop 1
	v_mov_b32_dpp v1, v0 row_shr:2 row_mask:0xf bank_mask:0xf
	v_add_f32_e32 v1, v0, v1
	v_cndmask_b32_e64 v0, v0, v1, s[0:1]
	s_nop 1
	v_mov_b32_dpp v1, v0 row_shr:4 row_mask:0xf bank_mask:0xf
	v_add_f32_e32 v1, v0, v1
	v_cndmask_b32_e64 v0, v0, v1, s[2:3]
	;; [unrolled: 4-line block ×3, first 2 shown]
	s_nop 1
	v_mov_b32_dpp v1, v0 row_bcast:15 row_mask:0xf bank_mask:0xf
	v_add_f32_e32 v1, v0, v1
	v_cndmask_b32_e64 v0, v1, v0, s[6:7]
	s_nop 1
	v_mov_b32_dpp v1, v0 row_bcast:31 row_mask:0xf bank_mask:0xf
	v_add_f32_e32 v1, v0, v1
	v_cndmask_b32_e64 v0, v0, v1, s[8:9]
	s_and_saveexec_b64 s[14:15], s[10:11]
	s_cbranch_execz .LBB173_3
; %bb.2:                                ;   in Loop: Header=BB173_1 Depth=1
	ds_write_b32 v27, v0
.LBB173_3:                              ;   in Loop: Header=BB173_1 Depth=1
	s_or_b64 exec, exec, s[14:15]
	v_add_f32_e32 v0, s20, v0
	ds_bpermute_b32 v0, v28, v0
	v_mov_b32_e32 v1, s20
	s_add_i32 s16, s16, -1
	s_cmp_lg_u32 s16, 0
	s_waitcnt lgkmcnt(0)
	v_cndmask_b32_e64 v18, v0, v1, s[12:13]
	v_add_f32_e32 v19, v10, v18
	v_add_f32_e32 v20, v11, v19
	;; [unrolled: 1-line block ×15, first 2 shown]
	; wave barrier
	s_cbranch_scc0 .LBB173_5
; %bb.4:                                ;   in Loop: Header=BB173_1 Depth=1
	v_mov_b32_e32 v11, v19
	v_mov_b32_e32 v10, v18
	;; [unrolled: 1-line block ×15, first 2 shown]
	s_branch .LBB173_1
.LBB173_5:
	v_mov_b32_e32 v6, s18
	v_mov_b32_e32 v7, s19
	v_lshl_add_u64 v[6:7], v[26:27], 2, v[6:7]
	v_mov_b32_e32 v3, v5
	global_store_dwordx4 v[6:7], v[18:21], off
	global_store_dwordx4 v[6:7], v[12:15], off offset:16
	global_store_dwordx4 v[6:7], v[22:25], off offset:32
	;; [unrolled: 1-line block ×3, first 2 shown]
	s_endpgm
	.section	.rodata,"a",@progbits
	.p2align	6, 0x0
	.amdhsa_kernel _Z6kernelI14exclusive_scanILN6hipcub18BlockScanAlgorithmE0EEfLj64ELj16ELj100EEvPKT0_PS4_S4_
		.amdhsa_group_segment_fixed_size 4
		.amdhsa_private_segment_fixed_size 0
		.amdhsa_kernarg_size 280
		.amdhsa_user_sgpr_count 2
		.amdhsa_user_sgpr_dispatch_ptr 0
		.amdhsa_user_sgpr_queue_ptr 0
		.amdhsa_user_sgpr_kernarg_segment_ptr 1
		.amdhsa_user_sgpr_dispatch_id 0
		.amdhsa_user_sgpr_kernarg_preload_length 0
		.amdhsa_user_sgpr_kernarg_preload_offset 0
		.amdhsa_user_sgpr_private_segment_size 0
		.amdhsa_uses_dynamic_stack 0
		.amdhsa_enable_private_segment 0
		.amdhsa_system_sgpr_workgroup_id_x 1
		.amdhsa_system_sgpr_workgroup_id_y 0
		.amdhsa_system_sgpr_workgroup_id_z 0
		.amdhsa_system_sgpr_workgroup_info 0
		.amdhsa_system_vgpr_workitem_id 0
		.amdhsa_next_free_vgpr 29
		.amdhsa_next_free_sgpr 21
		.amdhsa_accum_offset 32
		.amdhsa_reserve_vcc 1
		.amdhsa_float_round_mode_32 0
		.amdhsa_float_round_mode_16_64 0
		.amdhsa_float_denorm_mode_32 3
		.amdhsa_float_denorm_mode_16_64 3
		.amdhsa_dx10_clamp 1
		.amdhsa_ieee_mode 1
		.amdhsa_fp16_overflow 0
		.amdhsa_tg_split 0
		.amdhsa_exception_fp_ieee_invalid_op 0
		.amdhsa_exception_fp_denorm_src 0
		.amdhsa_exception_fp_ieee_div_zero 0
		.amdhsa_exception_fp_ieee_overflow 0
		.amdhsa_exception_fp_ieee_underflow 0
		.amdhsa_exception_fp_ieee_inexact 0
		.amdhsa_exception_int_div_zero 0
	.end_amdhsa_kernel
	.section	.text._Z6kernelI14exclusive_scanILN6hipcub18BlockScanAlgorithmE0EEfLj64ELj16ELj100EEvPKT0_PS4_S4_,"axG",@progbits,_Z6kernelI14exclusive_scanILN6hipcub18BlockScanAlgorithmE0EEfLj64ELj16ELj100EEvPKT0_PS4_S4_,comdat
.Lfunc_end173:
	.size	_Z6kernelI14exclusive_scanILN6hipcub18BlockScanAlgorithmE0EEfLj64ELj16ELj100EEvPKT0_PS4_S4_, .Lfunc_end173-_Z6kernelI14exclusive_scanILN6hipcub18BlockScanAlgorithmE0EEfLj64ELj16ELj100EEvPKT0_PS4_S4_
                                        ; -- End function
	.section	.AMDGPU.csdata,"",@progbits
; Kernel info:
; codeLenInByte = 676
; NumSgprs: 27
; NumVgprs: 29
; NumAgprs: 0
; TotalNumVgprs: 29
; ScratchSize: 0
; MemoryBound: 0
; FloatMode: 240
; IeeeMode: 1
; LDSByteSize: 4 bytes/workgroup (compile time only)
; SGPRBlocks: 3
; VGPRBlocks: 3
; NumSGPRsForWavesPerEU: 27
; NumVGPRsForWavesPerEU: 29
; AccumOffset: 32
; Occupancy: 8
; WaveLimiterHint : 0
; COMPUTE_PGM_RSRC2:SCRATCH_EN: 0
; COMPUTE_PGM_RSRC2:USER_SGPR: 2
; COMPUTE_PGM_RSRC2:TRAP_HANDLER: 0
; COMPUTE_PGM_RSRC2:TGID_X_EN: 1
; COMPUTE_PGM_RSRC2:TGID_Y_EN: 0
; COMPUTE_PGM_RSRC2:TGID_Z_EN: 0
; COMPUTE_PGM_RSRC2:TIDIG_COMP_CNT: 0
; COMPUTE_PGM_RSRC3_GFX90A:ACCUM_OFFSET: 7
; COMPUTE_PGM_RSRC3_GFX90A:TG_SPLIT: 0
	.section	.text._Z6kernelI14exclusive_scanILN6hipcub18BlockScanAlgorithmE0EEdLj64ELj1ELj100EEvPKT0_PS4_S4_,"axG",@progbits,_Z6kernelI14exclusive_scanILN6hipcub18BlockScanAlgorithmE0EEdLj64ELj1ELj100EEvPKT0_PS4_S4_,comdat
	.protected	_Z6kernelI14exclusive_scanILN6hipcub18BlockScanAlgorithmE0EEdLj64ELj1ELj100EEvPKT0_PS4_S4_ ; -- Begin function _Z6kernelI14exclusive_scanILN6hipcub18BlockScanAlgorithmE0EEdLj64ELj1ELj100EEvPKT0_PS4_S4_
	.globl	_Z6kernelI14exclusive_scanILN6hipcub18BlockScanAlgorithmE0EEdLj64ELj1ELj100EEvPKT0_PS4_S4_
	.p2align	8
	.type	_Z6kernelI14exclusive_scanILN6hipcub18BlockScanAlgorithmE0EEdLj64ELj1ELj100EEvPKT0_PS4_S4_,@function
_Z6kernelI14exclusive_scanILN6hipcub18BlockScanAlgorithmE0EEdLj64ELj1ELj100EEvPKT0_PS4_S4_: ; @_Z6kernelI14exclusive_scanILN6hipcub18BlockScanAlgorithmE0EEdLj64ELj1ELj100EEvPKT0_PS4_S4_
; %bb.0:
	s_load_dwordx4 s[12:15], s[0:1], 0x0
	s_load_dword s3, s[0:1], 0x24
	s_load_dwordx2 s[16:17], s[0:1], 0x10
	v_mov_b32_e32 v3, 0
	v_mbcnt_lo_u32_b32 v1, -1, 0
	s_waitcnt lgkmcnt(0)
	v_mov_b32_e32 v4, s12
	s_and_b32 s0, s3, 0xffff
	s_mul_i32 s2, s2, s0
	v_mov_b32_e32 v5, s13
	v_add_u32_e32 v2, s2, v0
	v_lshl_add_u64 v[4:5], v[2:3], 3, v[4:5]
	global_load_dwordx2 v[4:5], v[4:5], off
	v_mbcnt_hi_u32_b32 v1, -1, v1
	v_and_b32_e32 v6, 15, v1
	v_cmp_eq_u32_e32 vcc, 0, v6
	v_cmp_lt_u32_e64 s[0:1], 1, v6
	v_cmp_lt_u32_e64 s[2:3], 3, v6
	v_cmp_lt_u32_e64 s[4:5], 7, v6
	v_and_b32_e32 v6, 16, v1
	v_cmp_eq_u32_e64 s[6:7], 0, v6
	v_cmp_eq_u32_e64 s[10:11], 63, v0
	v_add_u32_e32 v0, -1, v1
	v_and_b32_e32 v6, 64, v1
	v_cmp_lt_i32_e64 s[12:13], v0, v6
	v_cmp_eq_u32_e64 s[8:9], 0, v1
	s_movk_i32 s20, 0x64
	v_cndmask_b32_e64 v0, v0, v1, s[12:13]
	v_lshlrev_b32_e32 v6, 2, v0
	v_cmp_lt_u32_e64 s[12:13], 31, v1
	v_mov_b32_e32 v7, s17
	v_mov_b32_e32 v8, s16
	s_branch .LBB174_2
.LBB174_1:                              ;   in Loop: Header=BB174_2 Depth=1
	s_or_b64 exec, exec, s[18:19]
	v_add_f64 v[0:1], v[0:1], s[16:17]
	ds_bpermute_b32 v1, v6, v1
	ds_bpermute_b32 v0, v6, v0
	s_add_i32 s20, s20, -1
	s_cmp_lg_u32 s20, 0
	s_waitcnt lgkmcnt(0)
	v_cndmask_b32_e64 v5, v1, v7, s[8:9]
	v_cndmask_b32_e64 v4, v0, v8, s[8:9]
	; wave barrier
	s_cbranch_scc0 .LBB174_4
.LBB174_2:                              ; =>This Inner Loop Header: Depth=1
	s_waitcnt vmcnt(0)
	v_mov_b32_dpp v0, v4 row_shr:1 row_mask:0xf bank_mask:0xf
	v_mov_b32_dpp v1, v5 row_shr:1 row_mask:0xf bank_mask:0xf
	v_add_f64 v[0:1], v[4:5], v[0:1]
	v_cndmask_b32_e32 v0, v0, v4, vcc
	v_cndmask_b32_e32 v1, v1, v5, vcc
	s_nop 0
	v_mov_b32_dpp v10, v0 row_shr:2 row_mask:0xf bank_mask:0xf
	v_mov_b32_dpp v11, v1 row_shr:2 row_mask:0xf bank_mask:0xf
	v_add_f64 v[10:11], v[0:1], v[10:11]
	v_cndmask_b32_e64 v0, v0, v10, s[0:1]
	v_cndmask_b32_e64 v1, v1, v11, s[0:1]
	s_nop 0
	v_mov_b32_dpp v10, v0 row_shr:4 row_mask:0xf bank_mask:0xf
	v_mov_b32_dpp v11, v1 row_shr:4 row_mask:0xf bank_mask:0xf
	v_add_f64 v[10:11], v[0:1], v[10:11]
	v_cndmask_b32_e64 v0, v0, v10, s[2:3]
	v_cndmask_b32_e64 v1, v1, v11, s[2:3]
	s_nop 0
	v_mov_b32_dpp v10, v0 row_shr:8 row_mask:0xf bank_mask:0xf
	v_mov_b32_dpp v11, v1 row_shr:8 row_mask:0xf bank_mask:0xf
	v_add_f64 v[10:11], v[0:1], v[10:11]
	v_cndmask_b32_e64 v0, v0, v10, s[4:5]
	v_cndmask_b32_e64 v1, v1, v11, s[4:5]
	s_nop 0
	v_mov_b32_dpp v10, v0 row_bcast:15 row_mask:0xf bank_mask:0xf
	v_mov_b32_dpp v11, v1 row_bcast:15 row_mask:0xf bank_mask:0xf
	v_add_f64 v[10:11], v[0:1], v[10:11]
	v_cndmask_b32_e64 v0, v10, v0, s[6:7]
	v_cndmask_b32_e64 v1, v11, v1, s[6:7]
	s_nop 0
	v_mov_b32_dpp v10, v0 row_bcast:31 row_mask:0xf bank_mask:0xf
	v_mov_b32_dpp v11, v1 row_bcast:31 row_mask:0xf bank_mask:0xf
	v_add_f64 v[10:11], v[0:1], v[10:11]
	v_cndmask_b32_e64 v0, v0, v10, s[12:13]
	v_cndmask_b32_e64 v1, v1, v11, s[12:13]
	;; [unrolled: 1-line block ×4, first 2 shown]
	s_and_saveexec_b64 s[18:19], s[10:11]
	s_cbranch_execz .LBB174_1
; %bb.3:                                ;   in Loop: Header=BB174_2 Depth=1
	ds_write_b64 v3, v[0:1]
	s_branch .LBB174_1
.LBB174_4:
	v_mov_b32_e32 v0, s14
	v_mov_b32_e32 v1, s15
	v_lshl_add_u64 v[0:1], v[2:3], 3, v[0:1]
	global_store_dwordx2 v[0:1], v[4:5], off
	s_endpgm
	.section	.rodata,"a",@progbits
	.p2align	6, 0x0
	.amdhsa_kernel _Z6kernelI14exclusive_scanILN6hipcub18BlockScanAlgorithmE0EEdLj64ELj1ELj100EEvPKT0_PS4_S4_
		.amdhsa_group_segment_fixed_size 8
		.amdhsa_private_segment_fixed_size 0
		.amdhsa_kernarg_size 280
		.amdhsa_user_sgpr_count 2
		.amdhsa_user_sgpr_dispatch_ptr 0
		.amdhsa_user_sgpr_queue_ptr 0
		.amdhsa_user_sgpr_kernarg_segment_ptr 1
		.amdhsa_user_sgpr_dispatch_id 0
		.amdhsa_user_sgpr_kernarg_preload_length 0
		.amdhsa_user_sgpr_kernarg_preload_offset 0
		.amdhsa_user_sgpr_private_segment_size 0
		.amdhsa_uses_dynamic_stack 0
		.amdhsa_enable_private_segment 0
		.amdhsa_system_sgpr_workgroup_id_x 1
		.amdhsa_system_sgpr_workgroup_id_y 0
		.amdhsa_system_sgpr_workgroup_id_z 0
		.amdhsa_system_sgpr_workgroup_info 0
		.amdhsa_system_vgpr_workitem_id 0
		.amdhsa_next_free_vgpr 12
		.amdhsa_next_free_sgpr 21
		.amdhsa_accum_offset 12
		.amdhsa_reserve_vcc 1
		.amdhsa_float_round_mode_32 0
		.amdhsa_float_round_mode_16_64 0
		.amdhsa_float_denorm_mode_32 3
		.amdhsa_float_denorm_mode_16_64 3
		.amdhsa_dx10_clamp 1
		.amdhsa_ieee_mode 1
		.amdhsa_fp16_overflow 0
		.amdhsa_tg_split 0
		.amdhsa_exception_fp_ieee_invalid_op 0
		.amdhsa_exception_fp_denorm_src 0
		.amdhsa_exception_fp_ieee_div_zero 0
		.amdhsa_exception_fp_ieee_overflow 0
		.amdhsa_exception_fp_ieee_underflow 0
		.amdhsa_exception_fp_ieee_inexact 0
		.amdhsa_exception_int_div_zero 0
	.end_amdhsa_kernel
	.section	.text._Z6kernelI14exclusive_scanILN6hipcub18BlockScanAlgorithmE0EEdLj64ELj1ELj100EEvPKT0_PS4_S4_,"axG",@progbits,_Z6kernelI14exclusive_scanILN6hipcub18BlockScanAlgorithmE0EEdLj64ELj1ELj100EEvPKT0_PS4_S4_,comdat
.Lfunc_end174:
	.size	_Z6kernelI14exclusive_scanILN6hipcub18BlockScanAlgorithmE0EEdLj64ELj1ELj100EEvPKT0_PS4_S4_, .Lfunc_end174-_Z6kernelI14exclusive_scanILN6hipcub18BlockScanAlgorithmE0EEdLj64ELj1ELj100EEvPKT0_PS4_S4_
                                        ; -- End function
	.section	.AMDGPU.csdata,"",@progbits
; Kernel info:
; codeLenInByte = 580
; NumSgprs: 27
; NumVgprs: 12
; NumAgprs: 0
; TotalNumVgprs: 12
; ScratchSize: 0
; MemoryBound: 0
; FloatMode: 240
; IeeeMode: 1
; LDSByteSize: 8 bytes/workgroup (compile time only)
; SGPRBlocks: 3
; VGPRBlocks: 1
; NumSGPRsForWavesPerEU: 27
; NumVGPRsForWavesPerEU: 12
; AccumOffset: 12
; Occupancy: 8
; WaveLimiterHint : 0
; COMPUTE_PGM_RSRC2:SCRATCH_EN: 0
; COMPUTE_PGM_RSRC2:USER_SGPR: 2
; COMPUTE_PGM_RSRC2:TRAP_HANDLER: 0
; COMPUTE_PGM_RSRC2:TGID_X_EN: 1
; COMPUTE_PGM_RSRC2:TGID_Y_EN: 0
; COMPUTE_PGM_RSRC2:TGID_Z_EN: 0
; COMPUTE_PGM_RSRC2:TIDIG_COMP_CNT: 0
; COMPUTE_PGM_RSRC3_GFX90A:ACCUM_OFFSET: 2
; COMPUTE_PGM_RSRC3_GFX90A:TG_SPLIT: 0
	.section	.text._Z6kernelI14exclusive_scanILN6hipcub18BlockScanAlgorithmE0EEdLj64ELj3ELj100EEvPKT0_PS4_S4_,"axG",@progbits,_Z6kernelI14exclusive_scanILN6hipcub18BlockScanAlgorithmE0EEdLj64ELj3ELj100EEvPKT0_PS4_S4_,comdat
	.protected	_Z6kernelI14exclusive_scanILN6hipcub18BlockScanAlgorithmE0EEdLj64ELj3ELj100EEvPKT0_PS4_S4_ ; -- Begin function _Z6kernelI14exclusive_scanILN6hipcub18BlockScanAlgorithmE0EEdLj64ELj3ELj100EEvPKT0_PS4_S4_
	.globl	_Z6kernelI14exclusive_scanILN6hipcub18BlockScanAlgorithmE0EEdLj64ELj3ELj100EEvPKT0_PS4_S4_
	.p2align	8
	.type	_Z6kernelI14exclusive_scanILN6hipcub18BlockScanAlgorithmE0EEdLj64ELj3ELj100EEvPKT0_PS4_S4_,@function
_Z6kernelI14exclusive_scanILN6hipcub18BlockScanAlgorithmE0EEdLj64ELj3ELj100EEvPKT0_PS4_S4_: ; @_Z6kernelI14exclusive_scanILN6hipcub18BlockScanAlgorithmE0EEdLj64ELj3ELj100EEvPKT0_PS4_S4_
; %bb.0:
	s_load_dword s3, s[0:1], 0x24
	s_load_dwordx4 s[16:19], s[0:1], 0x0
	s_load_dwordx2 s[20:21], s[0:1], 0x10
	v_mov_b32_e32 v3, 0
	v_mov_b32_e32 v5, v3
	s_waitcnt lgkmcnt(0)
	s_and_b32 s0, s3, 0xffff
	s_mul_i32 s2, s2, s0
	v_add_u32_e32 v1, s2, v0
	v_lshl_add_u32 v2, v1, 1, v1
	v_lshl_add_u64 v[14:15], v[2:3], 3, s[16:17]
	v_add_u32_e32 v4, 1, v2
	v_add_u32_e32 v6, 2, v2
	v_mov_b32_e32 v7, v3
	v_lshl_add_u64 v[16:17], v[4:5], 3, s[16:17]
	v_lshl_add_u64 v[18:19], v[6:7], 3, s[16:17]
	global_load_dwordx2 v[10:11], v[14:15], off
	global_load_dwordx2 v[8:9], v[16:17], off
	;; [unrolled: 1-line block ×3, first 2 shown]
	v_mbcnt_lo_u32_b32 v1, -1, 0
	v_mbcnt_hi_u32_b32 v1, -1, v1
	v_and_b32_e32 v14, 15, v1
	v_cmp_eq_u32_e32 vcc, 0, v14
	v_cmp_lt_u32_e64 s[0:1], 1, v14
	v_cmp_lt_u32_e64 s[2:3], 3, v14
	;; [unrolled: 1-line block ×3, first 2 shown]
	v_and_b32_e32 v14, 16, v1
	v_cmp_eq_u32_e64 s[6:7], 0, v14
	v_add_u32_e32 v14, -1, v1
	v_and_b32_e32 v15, 64, v1
	v_cmp_lt_i32_e64 s[12:13], v14, v15
	v_cmp_eq_u32_e64 s[8:9], 0, v1
	v_cmp_eq_u32_e64 s[10:11], 63, v0
	v_cndmask_b32_e64 v14, v14, v1, s[12:13]
	v_cmp_eq_u32_e64 s[12:13], 0, v0
	v_lshlrev_b32_e32 v16, 2, v14
	s_or_b64 s[12:13], s[12:13], s[8:9]
	v_cmp_lt_u32_e64 s[14:15], 31, v1
	s_movk_i32 s22, 0x64
	v_mov_b32_e32 v17, s21
	v_mov_b32_e32 v18, s20
.LBB175_1:                              ; =>This Inner Loop Header: Depth=1
	s_waitcnt vmcnt(1)
	v_add_f64 v[0:1], v[10:11], v[8:9]
	s_waitcnt vmcnt(0)
	v_add_f64 v[0:1], v[12:13], v[0:1]
	s_nop 1
	v_mov_b32_dpp v12, v0 row_shr:1 row_mask:0xf bank_mask:0xf
	v_mov_b32_dpp v13, v1 row_shr:1 row_mask:0xf bank_mask:0xf
	v_add_f64 v[12:13], v[0:1], v[12:13]
	v_cndmask_b32_e32 v12, v12, v0, vcc
	v_cndmask_b32_e32 v13, v13, v1, vcc
	s_nop 0
	v_mov_b32_dpp v14, v12 row_shr:2 row_mask:0xf bank_mask:0xf
	v_mov_b32_dpp v15, v13 row_shr:2 row_mask:0xf bank_mask:0xf
	v_add_f64 v[14:15], v[12:13], v[14:15]
	v_cndmask_b32_e64 v12, v12, v14, s[0:1]
	v_cndmask_b32_e64 v13, v13, v15, s[0:1]
	s_nop 0
	v_mov_b32_dpp v14, v12 row_shr:4 row_mask:0xf bank_mask:0xf
	v_mov_b32_dpp v15, v13 row_shr:4 row_mask:0xf bank_mask:0xf
	v_add_f64 v[14:15], v[12:13], v[14:15]
	v_cndmask_b32_e64 v12, v12, v14, s[2:3]
	v_cndmask_b32_e64 v13, v13, v15, s[2:3]
	;; [unrolled: 6-line block ×3, first 2 shown]
	s_nop 0
	v_mov_b32_dpp v14, v12 row_bcast:15 row_mask:0xf bank_mask:0xf
	v_mov_b32_dpp v15, v13 row_bcast:15 row_mask:0xf bank_mask:0xf
	v_add_f64 v[14:15], v[12:13], v[14:15]
	v_cndmask_b32_e64 v12, v14, v12, s[6:7]
	v_cndmask_b32_e64 v13, v15, v13, s[6:7]
	s_nop 0
	v_mov_b32_dpp v14, v12 row_bcast:31 row_mask:0xf bank_mask:0xf
	v_mov_b32_dpp v15, v13 row_bcast:31 row_mask:0xf bank_mask:0xf
	v_add_f64 v[14:15], v[12:13], v[14:15]
	v_cndmask_b32_e64 v12, v12, v14, s[14:15]
	v_cndmask_b32_e64 v13, v13, v15, s[14:15]
	;; [unrolled: 1-line block ×4, first 2 shown]
	s_and_saveexec_b64 s[16:17], s[10:11]
	s_cbranch_execz .LBB175_3
; %bb.2:                                ;   in Loop: Header=BB175_1 Depth=1
	ds_write_b64 v3, v[0:1]
.LBB175_3:                              ;   in Loop: Header=BB175_1 Depth=1
	s_or_b64 exec, exec, s[16:17]
	v_add_f64 v[0:1], v[0:1], s[20:21]
	ds_bpermute_b32 v1, v16, v1
	ds_bpermute_b32 v0, v16, v0
	s_add_i32 s22, s22, -1
	s_cmp_lg_u32 s22, 0
	s_waitcnt lgkmcnt(0)
	v_cndmask_b32_e64 v1, v1, v17, s[12:13]
	v_cndmask_b32_e64 v0, v0, v18, s[12:13]
	v_add_f64 v[14:15], v[10:11], v[0:1]
	v_add_f64 v[12:13], v[8:9], v[14:15]
	; wave barrier
	s_cbranch_scc0 .LBB175_5
; %bb.4:                                ;   in Loop: Header=BB175_1 Depth=1
	v_mov_b64_e32 v[10:11], v[0:1]
	v_mov_b64_e32 v[8:9], v[14:15]
	s_branch .LBB175_1
.LBB175_5:
	v_lshl_add_u64 v[2:3], v[2:3], 3, s[18:19]
	global_store_dwordx2 v[2:3], v[0:1], off
	v_lshl_add_u64 v[0:1], v[4:5], 3, s[18:19]
	global_store_dwordx2 v[0:1], v[14:15], off
	;; [unrolled: 2-line block ×3, first 2 shown]
	s_endpgm
	.section	.rodata,"a",@progbits
	.p2align	6, 0x0
	.amdhsa_kernel _Z6kernelI14exclusive_scanILN6hipcub18BlockScanAlgorithmE0EEdLj64ELj3ELj100EEvPKT0_PS4_S4_
		.amdhsa_group_segment_fixed_size 8
		.amdhsa_private_segment_fixed_size 0
		.amdhsa_kernarg_size 280
		.amdhsa_user_sgpr_count 2
		.amdhsa_user_sgpr_dispatch_ptr 0
		.amdhsa_user_sgpr_queue_ptr 0
		.amdhsa_user_sgpr_kernarg_segment_ptr 1
		.amdhsa_user_sgpr_dispatch_id 0
		.amdhsa_user_sgpr_kernarg_preload_length 0
		.amdhsa_user_sgpr_kernarg_preload_offset 0
		.amdhsa_user_sgpr_private_segment_size 0
		.amdhsa_uses_dynamic_stack 0
		.amdhsa_enable_private_segment 0
		.amdhsa_system_sgpr_workgroup_id_x 1
		.amdhsa_system_sgpr_workgroup_id_y 0
		.amdhsa_system_sgpr_workgroup_id_z 0
		.amdhsa_system_sgpr_workgroup_info 0
		.amdhsa_system_vgpr_workitem_id 0
		.amdhsa_next_free_vgpr 20
		.amdhsa_next_free_sgpr 23
		.amdhsa_accum_offset 20
		.amdhsa_reserve_vcc 1
		.amdhsa_float_round_mode_32 0
		.amdhsa_float_round_mode_16_64 0
		.amdhsa_float_denorm_mode_32 3
		.amdhsa_float_denorm_mode_16_64 3
		.amdhsa_dx10_clamp 1
		.amdhsa_ieee_mode 1
		.amdhsa_fp16_overflow 0
		.amdhsa_tg_split 0
		.amdhsa_exception_fp_ieee_invalid_op 0
		.amdhsa_exception_fp_denorm_src 0
		.amdhsa_exception_fp_ieee_div_zero 0
		.amdhsa_exception_fp_ieee_overflow 0
		.amdhsa_exception_fp_ieee_underflow 0
		.amdhsa_exception_fp_ieee_inexact 0
		.amdhsa_exception_int_div_zero 0
	.end_amdhsa_kernel
	.section	.text._Z6kernelI14exclusive_scanILN6hipcub18BlockScanAlgorithmE0EEdLj64ELj3ELj100EEvPKT0_PS4_S4_,"axG",@progbits,_Z6kernelI14exclusive_scanILN6hipcub18BlockScanAlgorithmE0EEdLj64ELj3ELj100EEvPKT0_PS4_S4_,comdat
.Lfunc_end175:
	.size	_Z6kernelI14exclusive_scanILN6hipcub18BlockScanAlgorithmE0EEdLj64ELj3ELj100EEvPKT0_PS4_S4_, .Lfunc_end175-_Z6kernelI14exclusive_scanILN6hipcub18BlockScanAlgorithmE0EEdLj64ELj3ELj100EEvPKT0_PS4_S4_
                                        ; -- End function
	.section	.AMDGPU.csdata,"",@progbits
; Kernel info:
; codeLenInByte = 708
; NumSgprs: 29
; NumVgprs: 20
; NumAgprs: 0
; TotalNumVgprs: 20
; ScratchSize: 0
; MemoryBound: 0
; FloatMode: 240
; IeeeMode: 1
; LDSByteSize: 8 bytes/workgroup (compile time only)
; SGPRBlocks: 3
; VGPRBlocks: 2
; NumSGPRsForWavesPerEU: 29
; NumVGPRsForWavesPerEU: 20
; AccumOffset: 20
; Occupancy: 8
; WaveLimiterHint : 0
; COMPUTE_PGM_RSRC2:SCRATCH_EN: 0
; COMPUTE_PGM_RSRC2:USER_SGPR: 2
; COMPUTE_PGM_RSRC2:TRAP_HANDLER: 0
; COMPUTE_PGM_RSRC2:TGID_X_EN: 1
; COMPUTE_PGM_RSRC2:TGID_Y_EN: 0
; COMPUTE_PGM_RSRC2:TGID_Z_EN: 0
; COMPUTE_PGM_RSRC2:TIDIG_COMP_CNT: 0
; COMPUTE_PGM_RSRC3_GFX90A:ACCUM_OFFSET: 4
; COMPUTE_PGM_RSRC3_GFX90A:TG_SPLIT: 0
	.section	.text._Z6kernelI14exclusive_scanILN6hipcub18BlockScanAlgorithmE0EEdLj64ELj4ELj100EEvPKT0_PS4_S4_,"axG",@progbits,_Z6kernelI14exclusive_scanILN6hipcub18BlockScanAlgorithmE0EEdLj64ELj4ELj100EEvPKT0_PS4_S4_,comdat
	.protected	_Z6kernelI14exclusive_scanILN6hipcub18BlockScanAlgorithmE0EEdLj64ELj4ELj100EEvPKT0_PS4_S4_ ; -- Begin function _Z6kernelI14exclusive_scanILN6hipcub18BlockScanAlgorithmE0EEdLj64ELj4ELj100EEvPKT0_PS4_S4_
	.globl	_Z6kernelI14exclusive_scanILN6hipcub18BlockScanAlgorithmE0EEdLj64ELj4ELj100EEvPKT0_PS4_S4_
	.p2align	8
	.type	_Z6kernelI14exclusive_scanILN6hipcub18BlockScanAlgorithmE0EEdLj64ELj4ELj100EEvPKT0_PS4_S4_,@function
_Z6kernelI14exclusive_scanILN6hipcub18BlockScanAlgorithmE0EEdLj64ELj4ELj100EEvPKT0_PS4_S4_: ; @_Z6kernelI14exclusive_scanILN6hipcub18BlockScanAlgorithmE0EEdLj64ELj4ELj100EEvPKT0_PS4_S4_
; %bb.0:
	s_load_dwordx4 s[16:19], s[0:1], 0x0
	s_load_dword s3, s[0:1], 0x24
	s_load_dwordx2 s[20:21], s[0:1], 0x10
	v_mov_b32_e32 v15, 0
	v_mbcnt_lo_u32_b32 v1, -1, 0
	s_waitcnt lgkmcnt(0)
	v_mov_b32_e32 v2, s16
	s_and_b32 s0, s3, 0xffff
	s_mul_i32 s2, s2, s0
	v_mov_b32_e32 v3, s17
	v_add_lshl_u32 v14, s2, v0, 2
	v_lshl_add_u64 v[10:11], v[14:15], 3, v[2:3]
	global_load_dwordx4 v[2:5], v[10:11], off offset:16
	global_load_dwordx4 v[6:9], v[10:11], off
	v_mbcnt_hi_u32_b32 v1, -1, v1
	v_and_b32_e32 v10, 15, v1
	v_cmp_eq_u32_e32 vcc, 0, v10
	v_cmp_lt_u32_e64 s[0:1], 1, v10
	v_cmp_lt_u32_e64 s[2:3], 3, v10
	;; [unrolled: 1-line block ×3, first 2 shown]
	v_and_b32_e32 v10, 16, v1
	v_cmp_eq_u32_e64 s[6:7], 0, v10
	v_add_u32_e32 v10, -1, v1
	v_and_b32_e32 v11, 64, v1
	v_cmp_lt_i32_e64 s[12:13], v10, v11
	v_cmp_eq_u32_e64 s[8:9], 0, v1
	v_cmp_eq_u32_e64 s[10:11], 63, v0
	v_cndmask_b32_e64 v10, v10, v1, s[12:13]
	v_cmp_eq_u32_e64 s[12:13], 0, v0
	v_lshlrev_b32_e32 v16, 2, v10
	s_or_b64 s[12:13], s[12:13], s[8:9]
	v_cmp_lt_u32_e64 s[14:15], 31, v1
	s_movk_i32 s22, 0x64
.LBB176_1:                              ; =>This Inner Loop Header: Depth=1
	s_waitcnt vmcnt(0)
	v_add_f64 v[0:1], v[6:7], v[8:9]
	v_add_f64 v[0:1], v[2:3], v[0:1]
	;; [unrolled: 1-line block ×3, first 2 shown]
	s_nop 1
	v_mov_b32_dpp v4, v0 row_shr:1 row_mask:0xf bank_mask:0xf
	v_mov_b32_dpp v5, v1 row_shr:1 row_mask:0xf bank_mask:0xf
	v_add_f64 v[4:5], v[0:1], v[4:5]
	v_cndmask_b32_e32 v4, v4, v0, vcc
	v_cndmask_b32_e32 v5, v5, v1, vcc
	s_nop 0
	v_mov_b32_dpp v10, v4 row_shr:2 row_mask:0xf bank_mask:0xf
	v_mov_b32_dpp v11, v5 row_shr:2 row_mask:0xf bank_mask:0xf
	v_add_f64 v[10:11], v[4:5], v[10:11]
	v_cndmask_b32_e64 v4, v4, v10, s[0:1]
	v_cndmask_b32_e64 v5, v5, v11, s[0:1]
	s_nop 0
	v_mov_b32_dpp v10, v4 row_shr:4 row_mask:0xf bank_mask:0xf
	v_mov_b32_dpp v11, v5 row_shr:4 row_mask:0xf bank_mask:0xf
	v_add_f64 v[10:11], v[4:5], v[10:11]
	v_cndmask_b32_e64 v4, v4, v10, s[2:3]
	v_cndmask_b32_e64 v5, v5, v11, s[2:3]
	;; [unrolled: 6-line block ×3, first 2 shown]
	s_nop 0
	v_mov_b32_dpp v10, v4 row_bcast:15 row_mask:0xf bank_mask:0xf
	v_mov_b32_dpp v11, v5 row_bcast:15 row_mask:0xf bank_mask:0xf
	v_add_f64 v[10:11], v[4:5], v[10:11]
	v_cndmask_b32_e64 v4, v10, v4, s[6:7]
	v_cndmask_b32_e64 v5, v11, v5, s[6:7]
	s_nop 0
	v_mov_b32_dpp v10, v4 row_bcast:31 row_mask:0xf bank_mask:0xf
	v_mov_b32_dpp v11, v5 row_bcast:31 row_mask:0xf bank_mask:0xf
	v_add_f64 v[10:11], v[4:5], v[10:11]
	v_cndmask_b32_e64 v4, v4, v10, s[14:15]
	v_cndmask_b32_e64 v5, v5, v11, s[14:15]
	;; [unrolled: 1-line block ×4, first 2 shown]
	s_and_saveexec_b64 s[16:17], s[10:11]
	s_cbranch_execz .LBB176_3
; %bb.2:                                ;   in Loop: Header=BB176_1 Depth=1
	ds_write_b64 v15, v[0:1]
.LBB176_3:                              ;   in Loop: Header=BB176_1 Depth=1
	s_or_b64 exec, exec, s[16:17]
	v_add_f64 v[0:1], v[0:1], s[20:21]
	ds_bpermute_b32 v1, v16, v1
	ds_bpermute_b32 v0, v16, v0
	v_mov_b32_e32 v4, s21
	s_add_i32 s22, s22, -1
	s_cmp_lg_u32 s22, 0
	s_waitcnt lgkmcnt(1)
	v_cndmask_b32_e64 v11, v1, v4, s[12:13]
	v_mov_b32_e32 v1, s20
	s_waitcnt lgkmcnt(0)
	v_cndmask_b32_e64 v10, v0, v1, s[12:13]
	v_add_f64 v[12:13], v[6:7], v[10:11]
	v_add_f64 v[0:1], v[8:9], v[12:13]
	;; [unrolled: 1-line block ×3, first 2 shown]
	s_waitcnt lgkmcnt(0)
	; wave barrier
	s_cbranch_scc0 .LBB176_5
; %bb.4:                                ;   in Loop: Header=BB176_1 Depth=1
	v_mov_b64_e32 v[6:7], v[10:11]
	v_mov_b64_e32 v[8:9], v[12:13]
	;; [unrolled: 1-line block ×3, first 2 shown]
	s_branch .LBB176_1
.LBB176_5:
	v_mov_b32_e32 v2, s18
	v_mov_b32_e32 v3, s19
	v_lshl_add_u64 v[6:7], v[14:15], 3, v[2:3]
	v_mov_b32_e32 v2, v4
	v_mov_b32_e32 v3, v5
	global_store_dwordx4 v[6:7], v[10:13], off
	global_store_dwordx4 v[6:7], v[0:3], off offset:16
	s_endpgm
	.section	.rodata,"a",@progbits
	.p2align	6, 0x0
	.amdhsa_kernel _Z6kernelI14exclusive_scanILN6hipcub18BlockScanAlgorithmE0EEdLj64ELj4ELj100EEvPKT0_PS4_S4_
		.amdhsa_group_segment_fixed_size 8
		.amdhsa_private_segment_fixed_size 0
		.amdhsa_kernarg_size 280
		.amdhsa_user_sgpr_count 2
		.amdhsa_user_sgpr_dispatch_ptr 0
		.amdhsa_user_sgpr_queue_ptr 0
		.amdhsa_user_sgpr_kernarg_segment_ptr 1
		.amdhsa_user_sgpr_dispatch_id 0
		.amdhsa_user_sgpr_kernarg_preload_length 0
		.amdhsa_user_sgpr_kernarg_preload_offset 0
		.amdhsa_user_sgpr_private_segment_size 0
		.amdhsa_uses_dynamic_stack 0
		.amdhsa_enable_private_segment 0
		.amdhsa_system_sgpr_workgroup_id_x 1
		.amdhsa_system_sgpr_workgroup_id_y 0
		.amdhsa_system_sgpr_workgroup_id_z 0
		.amdhsa_system_sgpr_workgroup_info 0
		.amdhsa_system_vgpr_workitem_id 0
		.amdhsa_next_free_vgpr 17
		.amdhsa_next_free_sgpr 23
		.amdhsa_accum_offset 20
		.amdhsa_reserve_vcc 1
		.amdhsa_float_round_mode_32 0
		.amdhsa_float_round_mode_16_64 0
		.amdhsa_float_denorm_mode_32 3
		.amdhsa_float_denorm_mode_16_64 3
		.amdhsa_dx10_clamp 1
		.amdhsa_ieee_mode 1
		.amdhsa_fp16_overflow 0
		.amdhsa_tg_split 0
		.amdhsa_exception_fp_ieee_invalid_op 0
		.amdhsa_exception_fp_denorm_src 0
		.amdhsa_exception_fp_ieee_div_zero 0
		.amdhsa_exception_fp_ieee_overflow 0
		.amdhsa_exception_fp_ieee_underflow 0
		.amdhsa_exception_fp_ieee_inexact 0
		.amdhsa_exception_int_div_zero 0
	.end_amdhsa_kernel
	.section	.text._Z6kernelI14exclusive_scanILN6hipcub18BlockScanAlgorithmE0EEdLj64ELj4ELj100EEvPKT0_PS4_S4_,"axG",@progbits,_Z6kernelI14exclusive_scanILN6hipcub18BlockScanAlgorithmE0EEdLj64ELj4ELj100EEvPKT0_PS4_S4_,comdat
.Lfunc_end176:
	.size	_Z6kernelI14exclusive_scanILN6hipcub18BlockScanAlgorithmE0EEdLj64ELj4ELj100EEvPKT0_PS4_S4_, .Lfunc_end176-_Z6kernelI14exclusive_scanILN6hipcub18BlockScanAlgorithmE0EEdLj64ELj4ELj100EEvPKT0_PS4_S4_
                                        ; -- End function
	.section	.AMDGPU.csdata,"",@progbits
; Kernel info:
; codeLenInByte = 688
; NumSgprs: 29
; NumVgprs: 17
; NumAgprs: 0
; TotalNumVgprs: 17
; ScratchSize: 0
; MemoryBound: 0
; FloatMode: 240
; IeeeMode: 1
; LDSByteSize: 8 bytes/workgroup (compile time only)
; SGPRBlocks: 3
; VGPRBlocks: 2
; NumSGPRsForWavesPerEU: 29
; NumVGPRsForWavesPerEU: 17
; AccumOffset: 20
; Occupancy: 8
; WaveLimiterHint : 0
; COMPUTE_PGM_RSRC2:SCRATCH_EN: 0
; COMPUTE_PGM_RSRC2:USER_SGPR: 2
; COMPUTE_PGM_RSRC2:TRAP_HANDLER: 0
; COMPUTE_PGM_RSRC2:TGID_X_EN: 1
; COMPUTE_PGM_RSRC2:TGID_Y_EN: 0
; COMPUTE_PGM_RSRC2:TGID_Z_EN: 0
; COMPUTE_PGM_RSRC2:TIDIG_COMP_CNT: 0
; COMPUTE_PGM_RSRC3_GFX90A:ACCUM_OFFSET: 4
; COMPUTE_PGM_RSRC3_GFX90A:TG_SPLIT: 0
	.section	.text._Z6kernelI14exclusive_scanILN6hipcub18BlockScanAlgorithmE0EEdLj64ELj8ELj100EEvPKT0_PS4_S4_,"axG",@progbits,_Z6kernelI14exclusive_scanILN6hipcub18BlockScanAlgorithmE0EEdLj64ELj8ELj100EEvPKT0_PS4_S4_,comdat
	.protected	_Z6kernelI14exclusive_scanILN6hipcub18BlockScanAlgorithmE0EEdLj64ELj8ELj100EEvPKT0_PS4_S4_ ; -- Begin function _Z6kernelI14exclusive_scanILN6hipcub18BlockScanAlgorithmE0EEdLj64ELj8ELj100EEvPKT0_PS4_S4_
	.globl	_Z6kernelI14exclusive_scanILN6hipcub18BlockScanAlgorithmE0EEdLj64ELj8ELj100EEvPKT0_PS4_S4_
	.p2align	8
	.type	_Z6kernelI14exclusive_scanILN6hipcub18BlockScanAlgorithmE0EEdLj64ELj8ELj100EEvPKT0_PS4_S4_,@function
_Z6kernelI14exclusive_scanILN6hipcub18BlockScanAlgorithmE0EEdLj64ELj8ELj100EEvPKT0_PS4_S4_: ; @_Z6kernelI14exclusive_scanILN6hipcub18BlockScanAlgorithmE0EEdLj64ELj8ELj100EEvPKT0_PS4_S4_
; %bb.0:
	s_load_dwordx4 s[16:19], s[0:1], 0x0
	s_load_dword s3, s[0:1], 0x24
	s_load_dwordx2 s[20:21], s[0:1], 0x10
	v_mov_b32_e32 v23, 0
	v_mbcnt_lo_u32_b32 v1, -1, 0
	s_waitcnt lgkmcnt(0)
	v_mov_b32_e32 v2, s16
	s_and_b32 s0, s3, 0xffff
	s_mul_i32 s2, s2, s0
	v_mov_b32_e32 v3, s17
	v_add_lshl_u32 v22, s2, v0, 3
	v_lshl_add_u64 v[18:19], v[22:23], 3, v[2:3]
	global_load_dwordx4 v[2:5], v[18:19], off offset:48
	global_load_dwordx4 v[6:9], v[18:19], off offset:32
	;; [unrolled: 1-line block ×3, first 2 shown]
	global_load_dwordx4 v[14:17], v[18:19], off
	v_mbcnt_hi_u32_b32 v1, -1, v1
	v_and_b32_e32 v18, 15, v1
	v_cmp_eq_u32_e32 vcc, 0, v18
	v_cmp_lt_u32_e64 s[0:1], 1, v18
	v_cmp_lt_u32_e64 s[2:3], 3, v18
	;; [unrolled: 1-line block ×3, first 2 shown]
	v_and_b32_e32 v18, 16, v1
	v_cmp_eq_u32_e64 s[6:7], 0, v18
	v_add_u32_e32 v18, -1, v1
	v_and_b32_e32 v19, 64, v1
	v_cmp_lt_i32_e64 s[12:13], v18, v19
	v_cmp_eq_u32_e64 s[8:9], 0, v1
	v_cmp_eq_u32_e64 s[10:11], 63, v0
	v_cndmask_b32_e64 v18, v18, v1, s[12:13]
	v_cmp_eq_u32_e64 s[12:13], 0, v0
	v_lshlrev_b32_e32 v24, 2, v18
	s_or_b64 s[12:13], s[12:13], s[8:9]
	v_cmp_lt_u32_e64 s[14:15], 31, v1
	s_movk_i32 s22, 0x64
.LBB177_1:                              ; =>This Inner Loop Header: Depth=1
	s_waitcnt vmcnt(0)
	v_add_f64 v[0:1], v[16:17], v[14:15]
	v_add_f64 v[0:1], v[10:11], v[0:1]
	;; [unrolled: 1-line block ×7, first 2 shown]
	s_nop 1
	v_mov_b32_dpp v4, v0 row_shr:1 row_mask:0xf bank_mask:0xf
	v_mov_b32_dpp v5, v1 row_shr:1 row_mask:0xf bank_mask:0xf
	v_add_f64 v[4:5], v[0:1], v[4:5]
	v_cndmask_b32_e32 v4, v4, v0, vcc
	v_cndmask_b32_e32 v5, v5, v1, vcc
	s_nop 0
	v_mov_b32_dpp v18, v4 row_shr:2 row_mask:0xf bank_mask:0xf
	v_mov_b32_dpp v19, v5 row_shr:2 row_mask:0xf bank_mask:0xf
	v_add_f64 v[18:19], v[4:5], v[18:19]
	v_cndmask_b32_e64 v4, v4, v18, s[0:1]
	v_cndmask_b32_e64 v5, v5, v19, s[0:1]
	s_nop 0
	v_mov_b32_dpp v18, v4 row_shr:4 row_mask:0xf bank_mask:0xf
	v_mov_b32_dpp v19, v5 row_shr:4 row_mask:0xf bank_mask:0xf
	v_add_f64 v[18:19], v[4:5], v[18:19]
	v_cndmask_b32_e64 v4, v4, v18, s[2:3]
	v_cndmask_b32_e64 v5, v5, v19, s[2:3]
	;; [unrolled: 6-line block ×3, first 2 shown]
	s_nop 0
	v_mov_b32_dpp v18, v4 row_bcast:15 row_mask:0xf bank_mask:0xf
	v_mov_b32_dpp v19, v5 row_bcast:15 row_mask:0xf bank_mask:0xf
	v_add_f64 v[18:19], v[4:5], v[18:19]
	v_cndmask_b32_e64 v4, v18, v4, s[6:7]
	v_cndmask_b32_e64 v5, v19, v5, s[6:7]
	s_nop 0
	v_mov_b32_dpp v18, v4 row_bcast:31 row_mask:0xf bank_mask:0xf
	v_mov_b32_dpp v19, v5 row_bcast:31 row_mask:0xf bank_mask:0xf
	v_add_f64 v[18:19], v[4:5], v[18:19]
	v_cndmask_b32_e64 v4, v4, v18, s[14:15]
	v_cndmask_b32_e64 v5, v5, v19, s[14:15]
	;; [unrolled: 1-line block ×4, first 2 shown]
	s_and_saveexec_b64 s[16:17], s[10:11]
	s_cbranch_execz .LBB177_3
; %bb.2:                                ;   in Loop: Header=BB177_1 Depth=1
	ds_write_b64 v23, v[0:1]
.LBB177_3:                              ;   in Loop: Header=BB177_1 Depth=1
	s_or_b64 exec, exec, s[16:17]
	v_add_f64 v[0:1], v[0:1], s[20:21]
	ds_bpermute_b32 v1, v24, v1
	ds_bpermute_b32 v0, v24, v0
	v_mov_b32_e32 v4, s21
	s_add_i32 s22, s22, -1
	s_cmp_lg_u32 s22, 0
	s_waitcnt lgkmcnt(1)
	v_cndmask_b32_e64 v19, v1, v4, s[12:13]
	v_mov_b32_e32 v1, s20
	s_waitcnt lgkmcnt(0)
	v_cndmask_b32_e64 v18, v0, v1, s[12:13]
	v_add_f64 v[20:21], v[14:15], v[18:19]
	v_add_f64 v[14:15], v[16:17], v[20:21]
	;; [unrolled: 1-line block ×7, first 2 shown]
	s_waitcnt lgkmcnt(0)
	; wave barrier
	s_cbranch_scc0 .LBB177_5
; %bb.4:                                ;   in Loop: Header=BB177_1 Depth=1
	v_mov_b64_e32 v[2:3], v[0:1]
	v_mov_b64_e32 v[8:9], v[12:13]
	;; [unrolled: 1-line block ×7, first 2 shown]
	s_branch .LBB177_1
.LBB177_5:
	v_mov_b32_e32 v2, s18
	v_mov_b32_e32 v3, s19
	v_lshl_add_u64 v[6:7], v[22:23], 3, v[2:3]
	v_mov_b32_e32 v2, v4
	v_mov_b32_e32 v3, v5
	global_store_dwordx4 v[6:7], v[18:21], off
	global_store_dwordx4 v[6:7], v[14:17], off offset:16
	global_store_dwordx4 v[6:7], v[10:13], off offset:32
	;; [unrolled: 1-line block ×3, first 2 shown]
	s_endpgm
	.section	.rodata,"a",@progbits
	.p2align	6, 0x0
	.amdhsa_kernel _Z6kernelI14exclusive_scanILN6hipcub18BlockScanAlgorithmE0EEdLj64ELj8ELj100EEvPKT0_PS4_S4_
		.amdhsa_group_segment_fixed_size 8
		.amdhsa_private_segment_fixed_size 0
		.amdhsa_kernarg_size 280
		.amdhsa_user_sgpr_count 2
		.amdhsa_user_sgpr_dispatch_ptr 0
		.amdhsa_user_sgpr_queue_ptr 0
		.amdhsa_user_sgpr_kernarg_segment_ptr 1
		.amdhsa_user_sgpr_dispatch_id 0
		.amdhsa_user_sgpr_kernarg_preload_length 0
		.amdhsa_user_sgpr_kernarg_preload_offset 0
		.amdhsa_user_sgpr_private_segment_size 0
		.amdhsa_uses_dynamic_stack 0
		.amdhsa_enable_private_segment 0
		.amdhsa_system_sgpr_workgroup_id_x 1
		.amdhsa_system_sgpr_workgroup_id_y 0
		.amdhsa_system_sgpr_workgroup_id_z 0
		.amdhsa_system_sgpr_workgroup_info 0
		.amdhsa_system_vgpr_workitem_id 0
		.amdhsa_next_free_vgpr 25
		.amdhsa_next_free_sgpr 23
		.amdhsa_accum_offset 28
		.amdhsa_reserve_vcc 1
		.amdhsa_float_round_mode_32 0
		.amdhsa_float_round_mode_16_64 0
		.amdhsa_float_denorm_mode_32 3
		.amdhsa_float_denorm_mode_16_64 3
		.amdhsa_dx10_clamp 1
		.amdhsa_ieee_mode 1
		.amdhsa_fp16_overflow 0
		.amdhsa_tg_split 0
		.amdhsa_exception_fp_ieee_invalid_op 0
		.amdhsa_exception_fp_denorm_src 0
		.amdhsa_exception_fp_ieee_div_zero 0
		.amdhsa_exception_fp_ieee_overflow 0
		.amdhsa_exception_fp_ieee_underflow 0
		.amdhsa_exception_fp_ieee_inexact 0
		.amdhsa_exception_int_div_zero 0
	.end_amdhsa_kernel
	.section	.text._Z6kernelI14exclusive_scanILN6hipcub18BlockScanAlgorithmE0EEdLj64ELj8ELj100EEvPKT0_PS4_S4_,"axG",@progbits,_Z6kernelI14exclusive_scanILN6hipcub18BlockScanAlgorithmE0EEdLj64ELj8ELj100EEvPKT0_PS4_S4_,comdat
.Lfunc_end177:
	.size	_Z6kernelI14exclusive_scanILN6hipcub18BlockScanAlgorithmE0EEdLj64ELj8ELj100EEvPKT0_PS4_S4_, .Lfunc_end177-_Z6kernelI14exclusive_scanILN6hipcub18BlockScanAlgorithmE0EEdLj64ELj8ELj100EEvPKT0_PS4_S4_
                                        ; -- End function
	.section	.AMDGPU.csdata,"",@progbits
; Kernel info:
; codeLenInByte = 800
; NumSgprs: 29
; NumVgprs: 25
; NumAgprs: 0
; TotalNumVgprs: 25
; ScratchSize: 0
; MemoryBound: 0
; FloatMode: 240
; IeeeMode: 1
; LDSByteSize: 8 bytes/workgroup (compile time only)
; SGPRBlocks: 3
; VGPRBlocks: 3
; NumSGPRsForWavesPerEU: 29
; NumVGPRsForWavesPerEU: 25
; AccumOffset: 28
; Occupancy: 8
; WaveLimiterHint : 0
; COMPUTE_PGM_RSRC2:SCRATCH_EN: 0
; COMPUTE_PGM_RSRC2:USER_SGPR: 2
; COMPUTE_PGM_RSRC2:TRAP_HANDLER: 0
; COMPUTE_PGM_RSRC2:TGID_X_EN: 1
; COMPUTE_PGM_RSRC2:TGID_Y_EN: 0
; COMPUTE_PGM_RSRC2:TGID_Z_EN: 0
; COMPUTE_PGM_RSRC2:TIDIG_COMP_CNT: 0
; COMPUTE_PGM_RSRC3_GFX90A:ACCUM_OFFSET: 6
; COMPUTE_PGM_RSRC3_GFX90A:TG_SPLIT: 0
	.section	.text._Z6kernelI14exclusive_scanILN6hipcub18BlockScanAlgorithmE0EEdLj64ELj11ELj100EEvPKT0_PS4_S4_,"axG",@progbits,_Z6kernelI14exclusive_scanILN6hipcub18BlockScanAlgorithmE0EEdLj64ELj11ELj100EEvPKT0_PS4_S4_,comdat
	.protected	_Z6kernelI14exclusive_scanILN6hipcub18BlockScanAlgorithmE0EEdLj64ELj11ELj100EEvPKT0_PS4_S4_ ; -- Begin function _Z6kernelI14exclusive_scanILN6hipcub18BlockScanAlgorithmE0EEdLj64ELj11ELj100EEvPKT0_PS4_S4_
	.globl	_Z6kernelI14exclusive_scanILN6hipcub18BlockScanAlgorithmE0EEdLj64ELj11ELj100EEvPKT0_PS4_S4_
	.p2align	8
	.type	_Z6kernelI14exclusive_scanILN6hipcub18BlockScanAlgorithmE0EEdLj64ELj11ELj100EEvPKT0_PS4_S4_,@function
_Z6kernelI14exclusive_scanILN6hipcub18BlockScanAlgorithmE0EEdLj64ELj11ELj100EEvPKT0_PS4_S4_: ; @_Z6kernelI14exclusive_scanILN6hipcub18BlockScanAlgorithmE0EEdLj64ELj11ELj100EEvPKT0_PS4_S4_
; %bb.0:
	s_load_dword s3, s[0:1], 0x24
	s_load_dwordx4 s[16:19], s[0:1], 0x0
	s_load_dwordx2 s[20:21], s[0:1], 0x10
	v_mov_b32_e32 v3, 0
	v_mov_b32_e32 v5, v3
	s_waitcnt lgkmcnt(0)
	s_and_b32 s0, s3, 0xffff
	s_mul_i32 s2, s2, s0
	v_add_u32_e32 v1, s2, v0
	v_mul_lo_u32 v2, v1, 11
	v_lshl_add_u64 v[10:11], v[2:3], 3, s[16:17]
	v_add_u32_e32 v4, 1, v2
	v_add_u32_e32 v6, 2, v2
	v_mov_b32_e32 v7, v3
	v_add_u32_e32 v8, 3, v2
	v_mov_b32_e32 v9, v3
	v_lshl_add_u64 v[12:13], v[4:5], 3, s[16:17]
	v_lshl_add_u64 v[14:15], v[6:7], 3, s[16:17]
	;; [unrolled: 1-line block ×3, first 2 shown]
	global_load_dwordx2 v[30:31], v[10:11], off
	global_load_dwordx2 v[28:29], v[12:13], off
	;; [unrolled: 1-line block ×4, first 2 shown]
	v_add_u32_e32 v10, 4, v2
	v_mov_b32_e32 v11, v3
	v_lshl_add_u64 v[18:19], v[10:11], 3, s[16:17]
	v_add_u32_e32 v12, 5, v2
	v_mov_b32_e32 v13, v3
	v_add_u32_e32 v14, 6, v2
	v_mov_b32_e32 v15, v3
	;; [unrolled: 2-line block ×3, first 2 shown]
	v_lshl_add_u64 v[20:21], v[12:13], 3, s[16:17]
	v_lshl_add_u64 v[22:23], v[14:15], 3, s[16:17]
	;; [unrolled: 1-line block ×3, first 2 shown]
	global_load_dwordx2 v[38:39], v[18:19], off
	global_load_dwordx2 v[36:37], v[20:21], off
	global_load_dwordx2 v[34:35], v[22:23], off
	global_load_dwordx2 v[32:33], v[40:41], off
	v_add_u32_e32 v18, 8, v2
	v_mov_b32_e32 v19, v3
	v_lshl_add_u64 v[46:47], v[18:19], 3, s[16:17]
	v_add_u32_e32 v20, 9, v2
	v_mov_b32_e32 v21, v3
	v_add_u32_e32 v22, 10, v2
	v_mov_b32_e32 v23, v3
	v_lshl_add_u64 v[48:49], v[20:21], 3, s[16:17]
	v_lshl_add_u64 v[50:51], v[22:23], 3, s[16:17]
	global_load_dwordx2 v[42:43], v[46:47], off
	global_load_dwordx2 v[40:41], v[48:49], off
	;; [unrolled: 1-line block ×3, first 2 shown]
	v_mbcnt_lo_u32_b32 v1, -1, 0
	v_mbcnt_hi_u32_b32 v1, -1, v1
	v_and_b32_e32 v46, 15, v1
	v_cmp_eq_u32_e32 vcc, 0, v46
	v_cmp_lt_u32_e64 s[0:1], 1, v46
	v_cmp_lt_u32_e64 s[2:3], 3, v46
	;; [unrolled: 1-line block ×3, first 2 shown]
	v_and_b32_e32 v46, 16, v1
	v_cmp_eq_u32_e64 s[6:7], 0, v46
	v_add_u32_e32 v46, -1, v1
	v_and_b32_e32 v47, 64, v1
	v_cmp_lt_i32_e64 s[12:13], v46, v47
	v_cmp_eq_u32_e64 s[8:9], 0, v1
	v_cmp_eq_u32_e64 s[10:11], 63, v0
	v_cndmask_b32_e64 v46, v46, v1, s[12:13]
	v_cmp_eq_u32_e64 s[12:13], 0, v0
	v_lshlrev_b32_e32 v46, 2, v46
	s_or_b64 s[12:13], s[12:13], s[8:9]
	v_cmp_lt_u32_e64 s[14:15], 31, v1
	s_movk_i32 s22, 0x64
.LBB178_1:                              ; =>This Inner Loop Header: Depth=1
	s_waitcnt vmcnt(9)
	v_add_f64 v[0:1], v[28:29], v[30:31]
	s_waitcnt vmcnt(8)
	v_add_f64 v[0:1], v[26:27], v[0:1]
	;; [unrolled: 2-line block ×10, first 2 shown]
	s_nop 1
	v_mov_b32_dpp v44, v0 row_shr:1 row_mask:0xf bank_mask:0xf
	v_mov_b32_dpp v45, v1 row_shr:1 row_mask:0xf bank_mask:0xf
	v_add_f64 v[44:45], v[0:1], v[44:45]
	v_cndmask_b32_e32 v44, v44, v0, vcc
	v_cndmask_b32_e32 v45, v45, v1, vcc
	s_nop 0
	v_mov_b32_dpp v48, v44 row_shr:2 row_mask:0xf bank_mask:0xf
	v_mov_b32_dpp v49, v45 row_shr:2 row_mask:0xf bank_mask:0xf
	v_add_f64 v[48:49], v[44:45], v[48:49]
	v_cndmask_b32_e64 v44, v44, v48, s[0:1]
	v_cndmask_b32_e64 v45, v45, v49, s[0:1]
	s_nop 0
	v_mov_b32_dpp v48, v44 row_shr:4 row_mask:0xf bank_mask:0xf
	v_mov_b32_dpp v49, v45 row_shr:4 row_mask:0xf bank_mask:0xf
	v_add_f64 v[48:49], v[44:45], v[48:49]
	v_cndmask_b32_e64 v44, v44, v48, s[2:3]
	v_cndmask_b32_e64 v45, v45, v49, s[2:3]
	s_nop 0
	v_mov_b32_dpp v48, v44 row_shr:8 row_mask:0xf bank_mask:0xf
	v_mov_b32_dpp v49, v45 row_shr:8 row_mask:0xf bank_mask:0xf
	v_add_f64 v[48:49], v[44:45], v[48:49]
	v_cndmask_b32_e64 v44, v44, v48, s[4:5]
	v_cndmask_b32_e64 v45, v45, v49, s[4:5]
	s_nop 0
	v_mov_b32_dpp v48, v44 row_bcast:15 row_mask:0xf bank_mask:0xf
	v_mov_b32_dpp v49, v45 row_bcast:15 row_mask:0xf bank_mask:0xf
	v_add_f64 v[48:49], v[44:45], v[48:49]
	v_cndmask_b32_e64 v44, v48, v44, s[6:7]
	v_cndmask_b32_e64 v45, v49, v45, s[6:7]
	s_nop 0
	v_mov_b32_dpp v48, v44 row_bcast:31 row_mask:0xf bank_mask:0xf
	v_mov_b32_dpp v49, v45 row_bcast:31 row_mask:0xf bank_mask:0xf
	v_add_f64 v[48:49], v[44:45], v[48:49]
	v_cndmask_b32_e64 v44, v44, v48, s[14:15]
	v_cndmask_b32_e64 v45, v45, v49, s[14:15]
	;; [unrolled: 1-line block ×4, first 2 shown]
	s_and_saveexec_b64 s[16:17], s[10:11]
	s_cbranch_execz .LBB178_3
; %bb.2:                                ;   in Loop: Header=BB178_1 Depth=1
	ds_write_b64 v3, v[0:1]
.LBB178_3:                              ;   in Loop: Header=BB178_1 Depth=1
	s_or_b64 exec, exec, s[16:17]
	v_add_f64 v[0:1], v[0:1], s[20:21]
	ds_bpermute_b32 v1, v46, v1
	ds_bpermute_b32 v0, v46, v0
	v_mov_b32_e32 v44, s21
	s_add_i32 s22, s22, -1
	s_cmp_lg_u32 s22, 0
	s_waitcnt lgkmcnt(1)
	v_cndmask_b32_e64 v1, v1, v44, s[12:13]
	v_mov_b32_e32 v44, s20
	s_waitcnt lgkmcnt(0)
	v_cndmask_b32_e64 v0, v0, v44, s[12:13]
	v_add_f64 v[30:31], v[30:31], v[0:1]
	v_add_f64 v[28:29], v[28:29], v[30:31]
	;; [unrolled: 1-line block ×10, first 2 shown]
	s_waitcnt lgkmcnt(0)
	; wave barrier
	s_cbranch_scc0 .LBB178_5
; %bb.4:                                ;   in Loop: Header=BB178_1 Depth=1
	v_mov_b64_e32 v[40:41], v[42:43]
	v_mov_b64_e32 v[42:43], v[32:33]
	;; [unrolled: 1-line block ×10, first 2 shown]
	s_branch .LBB178_1
.LBB178_5:
	v_lshl_add_u64 v[2:3], v[2:3], 3, s[18:19]
	global_store_dwordx2 v[2:3], v[0:1], off
	v_lshl_add_u64 v[0:1], v[4:5], 3, s[18:19]
	global_store_dwordx2 v[0:1], v[30:31], off
	v_lshl_add_u64 v[0:1], v[6:7], 3, s[18:19]
	global_store_dwordx2 v[0:1], v[28:29], off
	v_lshl_add_u64 v[0:1], v[8:9], 3, s[18:19]
	global_store_dwordx2 v[0:1], v[26:27], off
	v_lshl_add_u64 v[0:1], v[10:11], 3, s[18:19]
	global_store_dwordx2 v[0:1], v[24:25], off
	v_lshl_add_u64 v[0:1], v[12:13], 3, s[18:19]
	global_store_dwordx2 v[0:1], v[38:39], off
	v_lshl_add_u64 v[0:1], v[14:15], 3, s[18:19]
	global_store_dwordx2 v[0:1], v[36:37], off
	v_lshl_add_u64 v[0:1], v[16:17], 3, s[18:19]
	global_store_dwordx2 v[0:1], v[34:35], off
	v_lshl_add_u64 v[0:1], v[18:19], 3, s[18:19]
	global_store_dwordx2 v[0:1], v[32:33], off
	v_lshl_add_u64 v[0:1], v[20:21], 3, s[18:19]
	global_store_dwordx2 v[0:1], v[42:43], off
	v_lshl_add_u64 v[0:1], v[22:23], 3, s[18:19]
	global_store_dwordx2 v[0:1], v[44:45], off
	s_endpgm
	.section	.rodata,"a",@progbits
	.p2align	6, 0x0
	.amdhsa_kernel _Z6kernelI14exclusive_scanILN6hipcub18BlockScanAlgorithmE0EEdLj64ELj11ELj100EEvPKT0_PS4_S4_
		.amdhsa_group_segment_fixed_size 8
		.amdhsa_private_segment_fixed_size 0
		.amdhsa_kernarg_size 280
		.amdhsa_user_sgpr_count 2
		.amdhsa_user_sgpr_dispatch_ptr 0
		.amdhsa_user_sgpr_queue_ptr 0
		.amdhsa_user_sgpr_kernarg_segment_ptr 1
		.amdhsa_user_sgpr_dispatch_id 0
		.amdhsa_user_sgpr_kernarg_preload_length 0
		.amdhsa_user_sgpr_kernarg_preload_offset 0
		.amdhsa_user_sgpr_private_segment_size 0
		.amdhsa_uses_dynamic_stack 0
		.amdhsa_enable_private_segment 0
		.amdhsa_system_sgpr_workgroup_id_x 1
		.amdhsa_system_sgpr_workgroup_id_y 0
		.amdhsa_system_sgpr_workgroup_id_z 0
		.amdhsa_system_sgpr_workgroup_info 0
		.amdhsa_system_vgpr_workitem_id 0
		.amdhsa_next_free_vgpr 52
		.amdhsa_next_free_sgpr 23
		.amdhsa_accum_offset 52
		.amdhsa_reserve_vcc 1
		.amdhsa_float_round_mode_32 0
		.amdhsa_float_round_mode_16_64 0
		.amdhsa_float_denorm_mode_32 3
		.amdhsa_float_denorm_mode_16_64 3
		.amdhsa_dx10_clamp 1
		.amdhsa_ieee_mode 1
		.amdhsa_fp16_overflow 0
		.amdhsa_tg_split 0
		.amdhsa_exception_fp_ieee_invalid_op 0
		.amdhsa_exception_fp_denorm_src 0
		.amdhsa_exception_fp_ieee_div_zero 0
		.amdhsa_exception_fp_ieee_overflow 0
		.amdhsa_exception_fp_ieee_underflow 0
		.amdhsa_exception_fp_ieee_inexact 0
		.amdhsa_exception_int_div_zero 0
	.end_amdhsa_kernel
	.section	.text._Z6kernelI14exclusive_scanILN6hipcub18BlockScanAlgorithmE0EEdLj64ELj11ELj100EEvPKT0_PS4_S4_,"axG",@progbits,_Z6kernelI14exclusive_scanILN6hipcub18BlockScanAlgorithmE0EEdLj64ELj11ELj100EEvPKT0_PS4_S4_,comdat
.Lfunc_end178:
	.size	_Z6kernelI14exclusive_scanILN6hipcub18BlockScanAlgorithmE0EEdLj64ELj11ELj100EEvPKT0_PS4_S4_, .Lfunc_end178-_Z6kernelI14exclusive_scanILN6hipcub18BlockScanAlgorithmE0EEdLj64ELj11ELj100EEvPKT0_PS4_S4_
                                        ; -- End function
	.section	.AMDGPU.csdata,"",@progbits
; Kernel info:
; codeLenInByte = 1228
; NumSgprs: 29
; NumVgprs: 52
; NumAgprs: 0
; TotalNumVgprs: 52
; ScratchSize: 0
; MemoryBound: 0
; FloatMode: 240
; IeeeMode: 1
; LDSByteSize: 8 bytes/workgroup (compile time only)
; SGPRBlocks: 3
; VGPRBlocks: 6
; NumSGPRsForWavesPerEU: 29
; NumVGPRsForWavesPerEU: 52
; AccumOffset: 52
; Occupancy: 8
; WaveLimiterHint : 0
; COMPUTE_PGM_RSRC2:SCRATCH_EN: 0
; COMPUTE_PGM_RSRC2:USER_SGPR: 2
; COMPUTE_PGM_RSRC2:TRAP_HANDLER: 0
; COMPUTE_PGM_RSRC2:TGID_X_EN: 1
; COMPUTE_PGM_RSRC2:TGID_Y_EN: 0
; COMPUTE_PGM_RSRC2:TGID_Z_EN: 0
; COMPUTE_PGM_RSRC2:TIDIG_COMP_CNT: 0
; COMPUTE_PGM_RSRC3_GFX90A:ACCUM_OFFSET: 12
; COMPUTE_PGM_RSRC3_GFX90A:TG_SPLIT: 0
	.section	.text._Z6kernelI14exclusive_scanILN6hipcub18BlockScanAlgorithmE0EEdLj64ELj16ELj100EEvPKT0_PS4_S4_,"axG",@progbits,_Z6kernelI14exclusive_scanILN6hipcub18BlockScanAlgorithmE0EEdLj64ELj16ELj100EEvPKT0_PS4_S4_,comdat
	.protected	_Z6kernelI14exclusive_scanILN6hipcub18BlockScanAlgorithmE0EEdLj64ELj16ELj100EEvPKT0_PS4_S4_ ; -- Begin function _Z6kernelI14exclusive_scanILN6hipcub18BlockScanAlgorithmE0EEdLj64ELj16ELj100EEvPKT0_PS4_S4_
	.globl	_Z6kernelI14exclusive_scanILN6hipcub18BlockScanAlgorithmE0EEdLj64ELj16ELj100EEvPKT0_PS4_S4_
	.p2align	8
	.type	_Z6kernelI14exclusive_scanILN6hipcub18BlockScanAlgorithmE0EEdLj64ELj16ELj100EEvPKT0_PS4_S4_,@function
_Z6kernelI14exclusive_scanILN6hipcub18BlockScanAlgorithmE0EEdLj64ELj16ELj100EEvPKT0_PS4_S4_: ; @_Z6kernelI14exclusive_scanILN6hipcub18BlockScanAlgorithmE0EEdLj64ELj16ELj100EEvPKT0_PS4_S4_
; %bb.0:
	s_load_dwordx4 s[16:19], s[0:1], 0x0
	s_load_dword s3, s[0:1], 0x24
	s_load_dwordx2 s[20:21], s[0:1], 0x10
	v_mov_b32_e32 v47, 0
	v_mbcnt_lo_u32_b32 v1, -1, 0
	s_waitcnt lgkmcnt(0)
	v_mov_b32_e32 v2, s16
	s_and_b32 s0, s3, 0xffff
	s_mul_i32 s2, s2, s0
	v_mov_b32_e32 v3, s17
	v_add_lshl_u32 v46, s2, v0, 4
	v_lshl_add_u64 v[34:35], v[46:47], 3, v[2:3]
	global_load_dwordx4 v[6:9], v[34:35], off offset:48
	global_load_dwordx4 v[10:13], v[34:35], off offset:32
	;; [unrolled: 1-line block ×3, first 2 shown]
	global_load_dwordx4 v[18:21], v[34:35], off
	global_load_dwordx4 v[2:5], v[34:35], off offset:112
	global_load_dwordx4 v[22:25], v[34:35], off offset:96
	;; [unrolled: 1-line block ×4, first 2 shown]
	v_mbcnt_hi_u32_b32 v1, -1, v1
	v_and_b32_e32 v34, 15, v1
	v_cmp_eq_u32_e32 vcc, 0, v34
	v_cmp_lt_u32_e64 s[0:1], 1, v34
	v_cmp_lt_u32_e64 s[2:3], 3, v34
	;; [unrolled: 1-line block ×3, first 2 shown]
	v_and_b32_e32 v34, 16, v1
	v_cmp_eq_u32_e64 s[6:7], 0, v34
	v_add_u32_e32 v34, -1, v1
	v_and_b32_e32 v35, 64, v1
	v_cmp_lt_i32_e64 s[12:13], v34, v35
	v_cmp_eq_u32_e64 s[8:9], 0, v1
	v_cmp_eq_u32_e64 s[10:11], 63, v0
	v_cndmask_b32_e64 v34, v34, v1, s[12:13]
	v_cmp_eq_u32_e64 s[12:13], 0, v0
	v_lshlrev_b32_e32 v48, 2, v34
	s_or_b64 s[12:13], s[12:13], s[8:9]
	v_cmp_lt_u32_e64 s[14:15], 31, v1
	s_movk_i32 s22, 0x64
.LBB179_1:                              ; =>This Inner Loop Header: Depth=1
	s_waitcnt vmcnt(4)
	v_add_f64 v[0:1], v[20:21], v[18:19]
	v_add_f64 v[0:1], v[14:15], v[0:1]
	;; [unrolled: 1-line block ×7, first 2 shown]
	s_waitcnt vmcnt(0)
	v_add_f64 v[0:1], v[30:31], v[0:1]
	v_add_f64 v[0:1], v[32:33], v[0:1]
	;; [unrolled: 1-line block ×8, first 2 shown]
	s_nop 1
	v_mov_b32_dpp v4, v0 row_shr:1 row_mask:0xf bank_mask:0xf
	v_mov_b32_dpp v5, v1 row_shr:1 row_mask:0xf bank_mask:0xf
	v_add_f64 v[4:5], v[0:1], v[4:5]
	v_cndmask_b32_e32 v4, v4, v0, vcc
	v_cndmask_b32_e32 v5, v5, v1, vcc
	s_nop 0
	v_mov_b32_dpp v34, v4 row_shr:2 row_mask:0xf bank_mask:0xf
	v_mov_b32_dpp v35, v5 row_shr:2 row_mask:0xf bank_mask:0xf
	v_add_f64 v[34:35], v[4:5], v[34:35]
	v_cndmask_b32_e64 v4, v4, v34, s[0:1]
	v_cndmask_b32_e64 v5, v5, v35, s[0:1]
	s_nop 0
	v_mov_b32_dpp v34, v4 row_shr:4 row_mask:0xf bank_mask:0xf
	v_mov_b32_dpp v35, v5 row_shr:4 row_mask:0xf bank_mask:0xf
	v_add_f64 v[34:35], v[4:5], v[34:35]
	v_cndmask_b32_e64 v4, v4, v34, s[2:3]
	v_cndmask_b32_e64 v5, v5, v35, s[2:3]
	;; [unrolled: 6-line block ×3, first 2 shown]
	s_nop 0
	v_mov_b32_dpp v34, v4 row_bcast:15 row_mask:0xf bank_mask:0xf
	v_mov_b32_dpp v35, v5 row_bcast:15 row_mask:0xf bank_mask:0xf
	v_add_f64 v[34:35], v[4:5], v[34:35]
	v_cndmask_b32_e64 v4, v34, v4, s[6:7]
	v_cndmask_b32_e64 v5, v35, v5, s[6:7]
	s_nop 0
	v_mov_b32_dpp v34, v4 row_bcast:31 row_mask:0xf bank_mask:0xf
	v_mov_b32_dpp v35, v5 row_bcast:31 row_mask:0xf bank_mask:0xf
	v_add_f64 v[34:35], v[4:5], v[34:35]
	v_cndmask_b32_e64 v4, v4, v34, s[14:15]
	v_cndmask_b32_e64 v5, v5, v35, s[14:15]
	;; [unrolled: 1-line block ×4, first 2 shown]
	s_and_saveexec_b64 s[16:17], s[10:11]
	s_cbranch_execz .LBB179_3
; %bb.2:                                ;   in Loop: Header=BB179_1 Depth=1
	ds_write_b64 v47, v[0:1]
.LBB179_3:                              ;   in Loop: Header=BB179_1 Depth=1
	s_or_b64 exec, exec, s[16:17]
	v_add_f64 v[0:1], v[0:1], s[20:21]
	ds_bpermute_b32 v1, v48, v1
	ds_bpermute_b32 v0, v48, v0
	v_mov_b32_e32 v4, s21
	s_add_i32 s22, s22, -1
	s_cmp_lg_u32 s22, 0
	s_waitcnt lgkmcnt(1)
	v_cndmask_b32_e64 v43, v1, v4, s[12:13]
	v_mov_b32_e32 v1, s20
	s_waitcnt lgkmcnt(0)
	v_cndmask_b32_e64 v42, v0, v1, s[12:13]
	v_add_f64 v[44:45], v[18:19], v[42:43]
	v_add_f64 v[38:39], v[20:21], v[44:45]
	;; [unrolled: 1-line block ×15, first 2 shown]
	s_waitcnt lgkmcnt(0)
	; wave barrier
	s_cbranch_scc0 .LBB179_5
; %bb.4:                                ;   in Loop: Header=BB179_1 Depth=1
	v_mov_b64_e32 v[2:3], v[0:1]
	v_mov_b64_e32 v[24:25], v[8:9]
	;; [unrolled: 1-line block ×15, first 2 shown]
	s_branch .LBB179_1
.LBB179_5:
	v_mov_b32_e32 v2, s18
	v_mov_b32_e32 v3, s19
	v_lshl_add_u64 v[22:23], v[46:47], 3, v[2:3]
	v_mov_b32_e32 v2, v4
	v_mov_b32_e32 v3, v5
	global_store_dwordx4 v[22:23], v[42:45], off
	global_store_dwordx4 v[22:23], v[38:41], off offset:16
	global_store_dwordx4 v[22:23], v[34:37], off offset:32
	;; [unrolled: 1-line block ×7, first 2 shown]
	s_endpgm
	.section	.rodata,"a",@progbits
	.p2align	6, 0x0
	.amdhsa_kernel _Z6kernelI14exclusive_scanILN6hipcub18BlockScanAlgorithmE0EEdLj64ELj16ELj100EEvPKT0_PS4_S4_
		.amdhsa_group_segment_fixed_size 8
		.amdhsa_private_segment_fixed_size 0
		.amdhsa_kernarg_size 280
		.amdhsa_user_sgpr_count 2
		.amdhsa_user_sgpr_dispatch_ptr 0
		.amdhsa_user_sgpr_queue_ptr 0
		.amdhsa_user_sgpr_kernarg_segment_ptr 1
		.amdhsa_user_sgpr_dispatch_id 0
		.amdhsa_user_sgpr_kernarg_preload_length 0
		.amdhsa_user_sgpr_kernarg_preload_offset 0
		.amdhsa_user_sgpr_private_segment_size 0
		.amdhsa_uses_dynamic_stack 0
		.amdhsa_enable_private_segment 0
		.amdhsa_system_sgpr_workgroup_id_x 1
		.amdhsa_system_sgpr_workgroup_id_y 0
		.amdhsa_system_sgpr_workgroup_id_z 0
		.amdhsa_system_sgpr_workgroup_info 0
		.amdhsa_system_vgpr_workitem_id 0
		.amdhsa_next_free_vgpr 49
		.amdhsa_next_free_sgpr 23
		.amdhsa_accum_offset 52
		.amdhsa_reserve_vcc 1
		.amdhsa_float_round_mode_32 0
		.amdhsa_float_round_mode_16_64 0
		.amdhsa_float_denorm_mode_32 3
		.amdhsa_float_denorm_mode_16_64 3
		.amdhsa_dx10_clamp 1
		.amdhsa_ieee_mode 1
		.amdhsa_fp16_overflow 0
		.amdhsa_tg_split 0
		.amdhsa_exception_fp_ieee_invalid_op 0
		.amdhsa_exception_fp_denorm_src 0
		.amdhsa_exception_fp_ieee_div_zero 0
		.amdhsa_exception_fp_ieee_overflow 0
		.amdhsa_exception_fp_ieee_underflow 0
		.amdhsa_exception_fp_ieee_inexact 0
		.amdhsa_exception_int_div_zero 0
	.end_amdhsa_kernel
	.section	.text._Z6kernelI14exclusive_scanILN6hipcub18BlockScanAlgorithmE0EEdLj64ELj16ELj100EEvPKT0_PS4_S4_,"axG",@progbits,_Z6kernelI14exclusive_scanILN6hipcub18BlockScanAlgorithmE0EEdLj64ELj16ELj100EEvPKT0_PS4_S4_,comdat
.Lfunc_end179:
	.size	_Z6kernelI14exclusive_scanILN6hipcub18BlockScanAlgorithmE0EEdLj64ELj16ELj100EEvPKT0_PS4_S4_, .Lfunc_end179-_Z6kernelI14exclusive_scanILN6hipcub18BlockScanAlgorithmE0EEdLj64ELj16ELj100EEvPKT0_PS4_S4_
                                        ; -- End function
	.section	.AMDGPU.csdata,"",@progbits
; Kernel info:
; codeLenInByte = 1028
; NumSgprs: 29
; NumVgprs: 49
; NumAgprs: 0
; TotalNumVgprs: 49
; ScratchSize: 0
; MemoryBound: 1
; FloatMode: 240
; IeeeMode: 1
; LDSByteSize: 8 bytes/workgroup (compile time only)
; SGPRBlocks: 3
; VGPRBlocks: 6
; NumSGPRsForWavesPerEU: 29
; NumVGPRsForWavesPerEU: 49
; AccumOffset: 52
; Occupancy: 8
; WaveLimiterHint : 0
; COMPUTE_PGM_RSRC2:SCRATCH_EN: 0
; COMPUTE_PGM_RSRC2:USER_SGPR: 2
; COMPUTE_PGM_RSRC2:TRAP_HANDLER: 0
; COMPUTE_PGM_RSRC2:TGID_X_EN: 1
; COMPUTE_PGM_RSRC2:TGID_Y_EN: 0
; COMPUTE_PGM_RSRC2:TGID_Z_EN: 0
; COMPUTE_PGM_RSRC2:TIDIG_COMP_CNT: 0
; COMPUTE_PGM_RSRC3_GFX90A:ACCUM_OFFSET: 12
; COMPUTE_PGM_RSRC3_GFX90A:TG_SPLIT: 0
	.section	.text._Z6kernelI14exclusive_scanILN6hipcub18BlockScanAlgorithmE0EEhLj64ELj1ELj100EEvPKT0_PS4_S4_,"axG",@progbits,_Z6kernelI14exclusive_scanILN6hipcub18BlockScanAlgorithmE0EEhLj64ELj1ELj100EEvPKT0_PS4_S4_,comdat
	.protected	_Z6kernelI14exclusive_scanILN6hipcub18BlockScanAlgorithmE0EEhLj64ELj1ELj100EEvPKT0_PS4_S4_ ; -- Begin function _Z6kernelI14exclusive_scanILN6hipcub18BlockScanAlgorithmE0EEhLj64ELj1ELj100EEvPKT0_PS4_S4_
	.globl	_Z6kernelI14exclusive_scanILN6hipcub18BlockScanAlgorithmE0EEhLj64ELj1ELj100EEvPKT0_PS4_S4_
	.p2align	8
	.type	_Z6kernelI14exclusive_scanILN6hipcub18BlockScanAlgorithmE0EEhLj64ELj1ELj100EEvPKT0_PS4_S4_,@function
_Z6kernelI14exclusive_scanILN6hipcub18BlockScanAlgorithmE0EEhLj64ELj1ELj100EEvPKT0_PS4_S4_: ; @_Z6kernelI14exclusive_scanILN6hipcub18BlockScanAlgorithmE0EEhLj64ELj1ELj100EEvPKT0_PS4_S4_
; %bb.0:
	s_load_dword s3, s[0:1], 0x24
	s_load_dwordx4 s[12:15], s[0:1], 0x0
	s_load_dword s18, s[0:1], 0x10
	v_mbcnt_lo_u32_b32 v1, -1, 0
	v_mbcnt_hi_u32_b32 v1, -1, v1
	s_waitcnt lgkmcnt(0)
	s_and_b32 s0, s3, 0xffff
	s_mul_i32 s2, s2, s0
	v_add_u32_e32 v2, s2, v0
	global_load_ubyte v4, v2, s[12:13]
	v_and_b32_e32 v5, 15, v1
	v_cmp_eq_u32_e32 vcc, 0, v5
	v_cmp_lt_u32_e64 s[0:1], 1, v5
	v_cmp_lt_u32_e64 s[2:3], 3, v5
	;; [unrolled: 1-line block ×3, first 2 shown]
	v_and_b32_e32 v5, 16, v1
	v_cmp_eq_u32_e64 s[6:7], 0, v5
	v_cmp_eq_u32_e64 s[10:11], 63, v0
	v_add_u32_e32 v0, -1, v1
	v_and_b32_e32 v5, 64, v1
	v_cmp_lt_i32_e64 s[12:13], v0, v5
	v_mov_b32_e32 v3, 0
	v_cmp_lt_u32_e64 s[8:9], 31, v1
	v_cndmask_b32_e64 v0, v0, v1, s[12:13]
	v_lshlrev_b32_e32 v0, 2, v0
	v_cmp_eq_u32_e64 s[12:13], 0, v1
	s_movk_i32 s19, 0x64
	v_mov_b32_e32 v1, s18
	s_branch .LBB180_2
.LBB180_1:                              ;   in Loop: Header=BB180_2 Depth=1
	s_or_b64 exec, exec, s[16:17]
	v_add_u16_e32 v4, s18, v4
	v_and_b32_e32 v4, 0xff, v4
	ds_bpermute_b32 v4, v0, v4
	s_add_i32 s19, s19, -1
	s_cmp_lg_u32 s19, 0
	s_waitcnt lgkmcnt(0)
	; wave barrier
	s_waitcnt lgkmcnt(0)
	v_cndmask_b32_e64 v4, v4, v1, s[12:13]
	s_cbranch_scc0 .LBB180_4
.LBB180_2:                              ; =>This Inner Loop Header: Depth=1
	s_waitcnt vmcnt(0)
	v_and_b32_e32 v5, 0xff, v4
	s_nop 1
	v_mov_b32_dpp v5, v5 row_shr:1 row_mask:0xf bank_mask:0xf
	v_cndmask_b32_e64 v5, v5, 0, vcc
	v_add_u16_e32 v4, v5, v4
	v_and_b32_e32 v5, 0xff, v4
	s_nop 1
	v_mov_b32_dpp v5, v5 row_shr:2 row_mask:0xf bank_mask:0xf
	v_cndmask_b32_e64 v5, 0, v5, s[0:1]
	v_add_u16_e32 v4, v4, v5
	v_and_b32_e32 v5, 0xff, v4
	s_nop 1
	v_mov_b32_dpp v5, v5 row_shr:4 row_mask:0xf bank_mask:0xf
	v_cndmask_b32_e64 v5, 0, v5, s[2:3]
	;; [unrolled: 5-line block ×3, first 2 shown]
	v_add_u16_e32 v4, v4, v5
	v_and_b32_e32 v5, 0xff, v4
	s_nop 1
	v_mov_b32_dpp v5, v5 row_bcast:15 row_mask:0xf bank_mask:0xf
	v_cndmask_b32_e64 v5, v5, 0, s[6:7]
	v_add_u16_e32 v4, v4, v5
	v_and_b32_e32 v5, 0xff, v4
	s_nop 1
	v_mov_b32_dpp v5, v5 row_bcast:31 row_mask:0xf bank_mask:0xf
	v_cndmask_b32_e64 v5, 0, v5, s[8:9]
	v_add_u16_e32 v4, v4, v5
	s_and_saveexec_b64 s[16:17], s[10:11]
	s_cbranch_execz .LBB180_1
; %bb.3:                                ;   in Loop: Header=BB180_2 Depth=1
	ds_write_b8 v3, v4
	s_branch .LBB180_1
.LBB180_4:
	v_lshl_add_u64 v[0:1], s[14:15], 0, v[2:3]
	global_store_byte v[0:1], v4, off
	s_endpgm
	.section	.rodata,"a",@progbits
	.p2align	6, 0x0
	.amdhsa_kernel _Z6kernelI14exclusive_scanILN6hipcub18BlockScanAlgorithmE0EEhLj64ELj1ELj100EEvPKT0_PS4_S4_
		.amdhsa_group_segment_fixed_size 1
		.amdhsa_private_segment_fixed_size 0
		.amdhsa_kernarg_size 280
		.amdhsa_user_sgpr_count 2
		.amdhsa_user_sgpr_dispatch_ptr 0
		.amdhsa_user_sgpr_queue_ptr 0
		.amdhsa_user_sgpr_kernarg_segment_ptr 1
		.amdhsa_user_sgpr_dispatch_id 0
		.amdhsa_user_sgpr_kernarg_preload_length 0
		.amdhsa_user_sgpr_kernarg_preload_offset 0
		.amdhsa_user_sgpr_private_segment_size 0
		.amdhsa_uses_dynamic_stack 0
		.amdhsa_enable_private_segment 0
		.amdhsa_system_sgpr_workgroup_id_x 1
		.amdhsa_system_sgpr_workgroup_id_y 0
		.amdhsa_system_sgpr_workgroup_id_z 0
		.amdhsa_system_sgpr_workgroup_info 0
		.amdhsa_system_vgpr_workitem_id 0
		.amdhsa_next_free_vgpr 6
		.amdhsa_next_free_sgpr 20
		.amdhsa_accum_offset 8
		.amdhsa_reserve_vcc 1
		.amdhsa_float_round_mode_32 0
		.amdhsa_float_round_mode_16_64 0
		.amdhsa_float_denorm_mode_32 3
		.amdhsa_float_denorm_mode_16_64 3
		.amdhsa_dx10_clamp 1
		.amdhsa_ieee_mode 1
		.amdhsa_fp16_overflow 0
		.amdhsa_tg_split 0
		.amdhsa_exception_fp_ieee_invalid_op 0
		.amdhsa_exception_fp_denorm_src 0
		.amdhsa_exception_fp_ieee_div_zero 0
		.amdhsa_exception_fp_ieee_overflow 0
		.amdhsa_exception_fp_ieee_underflow 0
		.amdhsa_exception_fp_ieee_inexact 0
		.amdhsa_exception_int_div_zero 0
	.end_amdhsa_kernel
	.section	.text._Z6kernelI14exclusive_scanILN6hipcub18BlockScanAlgorithmE0EEhLj64ELj1ELj100EEvPKT0_PS4_S4_,"axG",@progbits,_Z6kernelI14exclusive_scanILN6hipcub18BlockScanAlgorithmE0EEhLj64ELj1ELj100EEvPKT0_PS4_S4_,comdat
.Lfunc_end180:
	.size	_Z6kernelI14exclusive_scanILN6hipcub18BlockScanAlgorithmE0EEhLj64ELj1ELj100EEvPKT0_PS4_S4_, .Lfunc_end180-_Z6kernelI14exclusive_scanILN6hipcub18BlockScanAlgorithmE0EEhLj64ELj1ELj100EEvPKT0_PS4_S4_
                                        ; -- End function
	.section	.AMDGPU.csdata,"",@progbits
; Kernel info:
; codeLenInByte = 468
; NumSgprs: 26
; NumVgprs: 6
; NumAgprs: 0
; TotalNumVgprs: 6
; ScratchSize: 0
; MemoryBound: 0
; FloatMode: 240
; IeeeMode: 1
; LDSByteSize: 1 bytes/workgroup (compile time only)
; SGPRBlocks: 3
; VGPRBlocks: 0
; NumSGPRsForWavesPerEU: 26
; NumVGPRsForWavesPerEU: 6
; AccumOffset: 8
; Occupancy: 8
; WaveLimiterHint : 0
; COMPUTE_PGM_RSRC2:SCRATCH_EN: 0
; COMPUTE_PGM_RSRC2:USER_SGPR: 2
; COMPUTE_PGM_RSRC2:TRAP_HANDLER: 0
; COMPUTE_PGM_RSRC2:TGID_X_EN: 1
; COMPUTE_PGM_RSRC2:TGID_Y_EN: 0
; COMPUTE_PGM_RSRC2:TGID_Z_EN: 0
; COMPUTE_PGM_RSRC2:TIDIG_COMP_CNT: 0
; COMPUTE_PGM_RSRC3_GFX90A:ACCUM_OFFSET: 1
; COMPUTE_PGM_RSRC3_GFX90A:TG_SPLIT: 0
	.section	.text._Z6kernelI14exclusive_scanILN6hipcub18BlockScanAlgorithmE0EEhLj64ELj3ELj100EEvPKT0_PS4_S4_,"axG",@progbits,_Z6kernelI14exclusive_scanILN6hipcub18BlockScanAlgorithmE0EEhLj64ELj3ELj100EEvPKT0_PS4_S4_,comdat
	.protected	_Z6kernelI14exclusive_scanILN6hipcub18BlockScanAlgorithmE0EEhLj64ELj3ELj100EEvPKT0_PS4_S4_ ; -- Begin function _Z6kernelI14exclusive_scanILN6hipcub18BlockScanAlgorithmE0EEhLj64ELj3ELj100EEvPKT0_PS4_S4_
	.globl	_Z6kernelI14exclusive_scanILN6hipcub18BlockScanAlgorithmE0EEhLj64ELj3ELj100EEvPKT0_PS4_S4_
	.p2align	8
	.type	_Z6kernelI14exclusive_scanILN6hipcub18BlockScanAlgorithmE0EEhLj64ELj3ELj100EEvPKT0_PS4_S4_,@function
_Z6kernelI14exclusive_scanILN6hipcub18BlockScanAlgorithmE0EEhLj64ELj3ELj100EEvPKT0_PS4_S4_: ; @_Z6kernelI14exclusive_scanILN6hipcub18BlockScanAlgorithmE0EEhLj64ELj3ELj100EEvPKT0_PS4_S4_
; %bb.0:
	s_load_dword s3, s[0:1], 0x24
	s_load_dwordx4 s[16:19], s[0:1], 0x0
	s_load_dword s20, s[0:1], 0x10
	v_mbcnt_lo_u32_b32 v10, -1, 0
	v_mbcnt_hi_u32_b32 v10, -1, v10
	s_waitcnt lgkmcnt(0)
	s_and_b32 s0, s3, 0xffff
	s_mul_i32 s2, s2, s0
	v_add_u32_e32 v1, s2, v0
	v_lshl_add_u32 v2, v1, 1, v1
	v_add_u32_e32 v4, 1, v2
	global_load_ubyte v1, v4, s[16:17]
	global_load_ubyte v8, v2, s[16:17]
	v_add_u32_e32 v6, 2, v2
	global_load_ubyte v9, v6, s[16:17]
	v_add_u32_e32 v12, -1, v10
	v_and_b32_e32 v13, 64, v10
	v_cmp_eq_u32_e32 vcc, 63, v0
	v_cmp_eq_u32_e64 s[12:13], 0, v0
	v_and_b32_e32 v0, 15, v10
	v_cmp_lt_i32_e64 s[16:17], v12, v13
	v_mov_b32_e32 v3, 0
	v_and_b32_e32 v11, 16, v10
	v_cmp_eq_u32_e64 s[14:15], 0, v10
	v_cmp_eq_u32_e64 s[2:3], 0, v0
	v_cmp_lt_u32_e64 s[4:5], 1, v0
	v_cmp_lt_u32_e64 s[6:7], 3, v0
	;; [unrolled: 1-line block ×3, first 2 shown]
	v_cndmask_b32_e64 v0, v12, v10, s[16:17]
	s_movk_i32 s21, 0x64
	v_mov_b32_e32 v5, v3
	v_mov_b32_e32 v7, v3
	v_cmp_lt_u32_e64 s[0:1], 31, v10
	v_cmp_eq_u32_e64 s[10:11], 0, v11
	s_or_b64 s[12:13], s[12:13], s[14:15]
	v_lshlrev_b32_e32 v0, 2, v0
	s_waitcnt vmcnt(2)
	v_lshlrev_b16_e32 v1, 8, v1
	s_waitcnt vmcnt(1)
	v_or_b32_e32 v1, v8, v1
	v_and_b32_e32 v1, 0xffff, v1
	s_waitcnt vmcnt(0)
	v_lshl_or_b32 v8, v9, 16, v1
	v_mov_b32_e32 v1, s20
	s_branch .LBB181_2
.LBB181_1:                              ;   in Loop: Header=BB181_2 Depth=1
	s_or_b64 exec, exec, s[14:15]
	v_add_u16_e32 v10, s20, v10
	v_and_b32_e32 v10, 0xff, v10
	ds_bpermute_b32 v10, v0, v10
	s_add_i32 s21, s21, -1
	s_cmp_lg_u32 s21, 0
	s_waitcnt lgkmcnt(0)
	; wave barrier
	s_waitcnt lgkmcnt(0)
	v_cndmask_b32_e64 v11, v10, v1, s[12:13]
	v_add_u16_e32 v10, v11, v8
	v_add_u16_e32 v9, v10, v9
	v_lshlrev_b16_e32 v8, 8, v10
	v_and_b32_e32 v12, 0xff, v9
	v_or_b32_sdwa v8, v11, v8 dst_sel:DWORD dst_unused:UNUSED_PAD src0_sel:BYTE_0 src1_sel:DWORD
	v_lshlrev_b32_e32 v12, 16, v12
	v_or_b32_sdwa v8, v8, v12 dst_sel:DWORD dst_unused:UNUSED_PAD src0_sel:WORD_0 src1_sel:DWORD
	s_cbranch_scc0 .LBB181_4
.LBB181_2:                              ; =>This Inner Loop Header: Depth=1
	v_lshrrev_b32_e32 v9, 8, v8
	v_add_u16_e32 v10, v9, v8
	v_add_u16_sdwa v10, v10, v8 dst_sel:DWORD dst_unused:UNUSED_PAD src0_sel:DWORD src1_sel:WORD_1
	v_and_b32_e32 v11, 0xff, v10
	s_nop 1
	v_mov_b32_dpp v11, v11 row_shr:1 row_mask:0xf bank_mask:0xf
	v_cndmask_b32_e64 v11, v11, 0, s[2:3]
	v_add_u16_e32 v10, v11, v10
	v_and_b32_e32 v11, 0xff, v10
	s_nop 1
	v_mov_b32_dpp v11, v11 row_shr:2 row_mask:0xf bank_mask:0xf
	v_cndmask_b32_e64 v11, 0, v11, s[4:5]
	v_add_u16_e32 v10, v10, v11
	;; [unrolled: 5-line block ×4, first 2 shown]
	v_and_b32_e32 v11, 0xff, v10
	s_nop 1
	v_mov_b32_dpp v11, v11 row_bcast:15 row_mask:0xf bank_mask:0xf
	v_cndmask_b32_e64 v11, v11, 0, s[10:11]
	v_add_u16_e32 v10, v10, v11
	v_and_b32_e32 v11, 0xff, v10
	s_nop 1
	v_mov_b32_dpp v11, v11 row_bcast:31 row_mask:0xf bank_mask:0xf
	v_cndmask_b32_e64 v11, 0, v11, s[0:1]
	v_add_u16_e32 v10, v10, v11
	s_and_saveexec_b64 s[14:15], vcc
	s_cbranch_execz .LBB181_1
; %bb.3:                                ;   in Loop: Header=BB181_2 Depth=1
	ds_write_b8 v3, v10
	s_branch .LBB181_1
.LBB181_4:
	v_lshl_add_u64 v[0:1], s[18:19], 0, v[2:3]
	global_store_byte v[0:1], v11, off
	v_lshl_add_u64 v[0:1], s[18:19], 0, v[4:5]
	global_store_byte v[0:1], v10, off
	;; [unrolled: 2-line block ×3, first 2 shown]
	s_endpgm
	.section	.rodata,"a",@progbits
	.p2align	6, 0x0
	.amdhsa_kernel _Z6kernelI14exclusive_scanILN6hipcub18BlockScanAlgorithmE0EEhLj64ELj3ELj100EEvPKT0_PS4_S4_
		.amdhsa_group_segment_fixed_size 1
		.amdhsa_private_segment_fixed_size 0
		.amdhsa_kernarg_size 280
		.amdhsa_user_sgpr_count 2
		.amdhsa_user_sgpr_dispatch_ptr 0
		.amdhsa_user_sgpr_queue_ptr 0
		.amdhsa_user_sgpr_kernarg_segment_ptr 1
		.amdhsa_user_sgpr_dispatch_id 0
		.amdhsa_user_sgpr_kernarg_preload_length 0
		.amdhsa_user_sgpr_kernarg_preload_offset 0
		.amdhsa_user_sgpr_private_segment_size 0
		.amdhsa_uses_dynamic_stack 0
		.amdhsa_enable_private_segment 0
		.amdhsa_system_sgpr_workgroup_id_x 1
		.amdhsa_system_sgpr_workgroup_id_y 0
		.amdhsa_system_sgpr_workgroup_id_z 0
		.amdhsa_system_sgpr_workgroup_info 0
		.amdhsa_system_vgpr_workitem_id 0
		.amdhsa_next_free_vgpr 14
		.amdhsa_next_free_sgpr 22
		.amdhsa_accum_offset 16
		.amdhsa_reserve_vcc 1
		.amdhsa_float_round_mode_32 0
		.amdhsa_float_round_mode_16_64 0
		.amdhsa_float_denorm_mode_32 3
		.amdhsa_float_denorm_mode_16_64 3
		.amdhsa_dx10_clamp 1
		.amdhsa_ieee_mode 1
		.amdhsa_fp16_overflow 0
		.amdhsa_tg_split 0
		.amdhsa_exception_fp_ieee_invalid_op 0
		.amdhsa_exception_fp_denorm_src 0
		.amdhsa_exception_fp_ieee_div_zero 0
		.amdhsa_exception_fp_ieee_overflow 0
		.amdhsa_exception_fp_ieee_underflow 0
		.amdhsa_exception_fp_ieee_inexact 0
		.amdhsa_exception_int_div_zero 0
	.end_amdhsa_kernel
	.section	.text._Z6kernelI14exclusive_scanILN6hipcub18BlockScanAlgorithmE0EEhLj64ELj3ELj100EEvPKT0_PS4_S4_,"axG",@progbits,_Z6kernelI14exclusive_scanILN6hipcub18BlockScanAlgorithmE0EEhLj64ELj3ELj100EEvPKT0_PS4_S4_,comdat
.Lfunc_end181:
	.size	_Z6kernelI14exclusive_scanILN6hipcub18BlockScanAlgorithmE0EEhLj64ELj3ELj100EEvPKT0_PS4_S4_, .Lfunc_end181-_Z6kernelI14exclusive_scanILN6hipcub18BlockScanAlgorithmE0EEhLj64ELj3ELj100EEvPKT0_PS4_S4_
                                        ; -- End function
	.section	.AMDGPU.csdata,"",@progbits
; Kernel info:
; codeLenInByte = 640
; NumSgprs: 28
; NumVgprs: 14
; NumAgprs: 0
; TotalNumVgprs: 14
; ScratchSize: 0
; MemoryBound: 0
; FloatMode: 240
; IeeeMode: 1
; LDSByteSize: 1 bytes/workgroup (compile time only)
; SGPRBlocks: 3
; VGPRBlocks: 1
; NumSGPRsForWavesPerEU: 28
; NumVGPRsForWavesPerEU: 14
; AccumOffset: 16
; Occupancy: 8
; WaveLimiterHint : 0
; COMPUTE_PGM_RSRC2:SCRATCH_EN: 0
; COMPUTE_PGM_RSRC2:USER_SGPR: 2
; COMPUTE_PGM_RSRC2:TRAP_HANDLER: 0
; COMPUTE_PGM_RSRC2:TGID_X_EN: 1
; COMPUTE_PGM_RSRC2:TGID_Y_EN: 0
; COMPUTE_PGM_RSRC2:TGID_Z_EN: 0
; COMPUTE_PGM_RSRC2:TIDIG_COMP_CNT: 0
; COMPUTE_PGM_RSRC3_GFX90A:ACCUM_OFFSET: 3
; COMPUTE_PGM_RSRC3_GFX90A:TG_SPLIT: 0
	.section	.text._Z6kernelI14exclusive_scanILN6hipcub18BlockScanAlgorithmE0EEhLj64ELj4ELj100EEvPKT0_PS4_S4_,"axG",@progbits,_Z6kernelI14exclusive_scanILN6hipcub18BlockScanAlgorithmE0EEhLj64ELj4ELj100EEvPKT0_PS4_S4_,comdat
	.protected	_Z6kernelI14exclusive_scanILN6hipcub18BlockScanAlgorithmE0EEhLj64ELj4ELj100EEvPKT0_PS4_S4_ ; -- Begin function _Z6kernelI14exclusive_scanILN6hipcub18BlockScanAlgorithmE0EEhLj64ELj4ELj100EEvPKT0_PS4_S4_
	.globl	_Z6kernelI14exclusive_scanILN6hipcub18BlockScanAlgorithmE0EEhLj64ELj4ELj100EEvPKT0_PS4_S4_
	.p2align	8
	.type	_Z6kernelI14exclusive_scanILN6hipcub18BlockScanAlgorithmE0EEhLj64ELj4ELj100EEvPKT0_PS4_S4_,@function
_Z6kernelI14exclusive_scanILN6hipcub18BlockScanAlgorithmE0EEhLj64ELj4ELj100EEvPKT0_PS4_S4_: ; @_Z6kernelI14exclusive_scanILN6hipcub18BlockScanAlgorithmE0EEhLj64ELj4ELj100EEvPKT0_PS4_S4_
; %bb.0:
	s_load_dword s3, s[0:1], 0x24
	s_load_dwordx4 s[16:19], s[0:1], 0x0
	s_load_dword s20, s[0:1], 0x10
	v_mbcnt_lo_u32_b32 v4, -1, 0
	v_mbcnt_hi_u32_b32 v5, -1, v4
	s_waitcnt lgkmcnt(0)
	s_and_b32 s0, s3, 0xffff
	s_mul_i32 s2, s2, s0
	v_add_lshl_u32 v2, s2, v0, 2
	global_load_dword v1, v2, s[16:17]
	v_and_b32_e32 v4, 15, v5
	v_cmp_eq_u32_e32 vcc, 0, v4
	v_cmp_lt_u32_e64 s[0:1], 1, v4
	v_cmp_lt_u32_e64 s[2:3], 3, v4
	;; [unrolled: 1-line block ×3, first 2 shown]
	v_and_b32_e32 v4, 16, v5
	v_cmp_eq_u32_e64 s[6:7], 0, v4
	v_add_u32_e32 v4, -1, v5
	v_and_b32_e32 v6, 64, v5
	v_cmp_lt_i32_e64 s[12:13], v4, v6
	v_cmp_eq_u32_e64 s[14:15], 0, v0
	v_mov_b32_e32 v3, 0
	v_cndmask_b32_e64 v4, v4, v5, s[12:13]
	v_cmp_eq_u32_e64 s[12:13], 0, v5
	v_cmp_lt_u32_e64 s[8:9], 31, v5
	v_cmp_eq_u32_e64 s[10:11], 63, v0
	v_lshlrev_b32_e32 v4, 2, v4
	s_or_b64 s[12:13], s[14:15], s[12:13]
	s_movk_i32 s16, 0x64
	v_mov_b32_e32 v0, s20
	s_branch .LBB182_2
.LBB182_1:                              ;   in Loop: Header=BB182_2 Depth=1
	s_or_b64 exec, exec, s[14:15]
	v_add_u16_e32 v6, s20, v6
	v_and_b32_e32 v6, 0xff, v6
	ds_bpermute_b32 v6, v4, v6
	s_add_i32 s16, s16, -1
	s_cmp_lg_u32 s16, 0
	s_waitcnt lgkmcnt(0)
	; wave barrier
	s_waitcnt lgkmcnt(0)
	v_cndmask_b32_e64 v6, v6, v0, s[12:13]
	v_add_u16_e32 v7, v6, v1
	v_add_u16_e32 v8, v7, v5
	v_add_u16_sdwa v1, v8, v1 dst_sel:DWORD dst_unused:UNUSED_PAD src0_sel:DWORD src1_sel:WORD_1
	v_lshlrev_b16_e32 v5, 8, v7
	v_lshlrev_b16_e32 v1, 8, v1
	v_or_b32_sdwa v5, v6, v5 dst_sel:DWORD dst_unused:UNUSED_PAD src0_sel:BYTE_0 src1_sel:DWORD
	v_or_b32_sdwa v6, v8, v1 dst_sel:WORD_1 dst_unused:UNUSED_PAD src0_sel:BYTE_0 src1_sel:DWORD
	s_nop 0
	v_or_b32_sdwa v1, v5, v6 dst_sel:DWORD dst_unused:UNUSED_PAD src0_sel:WORD_0 src1_sel:DWORD
	s_cbranch_scc0 .LBB182_4
.LBB182_2:                              ; =>This Inner Loop Header: Depth=1
	s_waitcnt vmcnt(0)
	v_lshrrev_b32_e32 v5, 8, v1
	v_add_u16_e32 v6, v5, v1
	v_add_u16_sdwa v6, v6, v1 dst_sel:DWORD dst_unused:UNUSED_PAD src0_sel:DWORD src1_sel:WORD_1
	v_add_u16_sdwa v6, v6, v1 dst_sel:DWORD dst_unused:UNUSED_PAD src0_sel:DWORD src1_sel:BYTE_3
	v_and_b32_e32 v7, 0xff, v6
	s_nop 1
	v_mov_b32_dpp v7, v7 row_shr:1 row_mask:0xf bank_mask:0xf
	v_cndmask_b32_e64 v7, v7, 0, vcc
	v_add_u16_e32 v6, v6, v7
	v_and_b32_e32 v7, 0xff, v6
	s_nop 1
	v_mov_b32_dpp v7, v7 row_shr:2 row_mask:0xf bank_mask:0xf
	v_cndmask_b32_e64 v7, 0, v7, s[0:1]
	v_add_u16_e32 v6, v6, v7
	v_and_b32_e32 v7, 0xff, v6
	s_nop 1
	v_mov_b32_dpp v7, v7 row_shr:4 row_mask:0xf bank_mask:0xf
	v_cndmask_b32_e64 v7, 0, v7, s[2:3]
	;; [unrolled: 5-line block ×3, first 2 shown]
	v_add_u16_e32 v6, v6, v7
	v_and_b32_e32 v7, 0xff, v6
	s_nop 1
	v_mov_b32_dpp v7, v7 row_bcast:15 row_mask:0xf bank_mask:0xf
	v_cndmask_b32_e64 v7, v7, 0, s[6:7]
	v_add_u16_e32 v6, v6, v7
	v_and_b32_e32 v7, 0xff, v6
	s_nop 1
	v_mov_b32_dpp v7, v7 row_bcast:31 row_mask:0xf bank_mask:0xf
	v_cndmask_b32_e64 v7, 0, v7, s[8:9]
	v_add_u16_e32 v6, v6, v7
	s_and_saveexec_b64 s[14:15], s[10:11]
	s_cbranch_execz .LBB182_1
; %bb.3:                                ;   in Loop: Header=BB182_2 Depth=1
	ds_write_b8 v3, v6
	s_branch .LBB182_1
.LBB182_4:
	v_lshl_add_u64 v[0:1], s[18:19], 0, v[2:3]
	v_or_b32_sdwa v2, v5, v6 dst_sel:DWORD dst_unused:UNUSED_PAD src0_sel:WORD_0 src1_sel:DWORD
	global_store_dword v[0:1], v2, off
	s_endpgm
	.section	.rodata,"a",@progbits
	.p2align	6, 0x0
	.amdhsa_kernel _Z6kernelI14exclusive_scanILN6hipcub18BlockScanAlgorithmE0EEhLj64ELj4ELj100EEvPKT0_PS4_S4_
		.amdhsa_group_segment_fixed_size 1
		.amdhsa_private_segment_fixed_size 0
		.amdhsa_kernarg_size 280
		.amdhsa_user_sgpr_count 2
		.amdhsa_user_sgpr_dispatch_ptr 0
		.amdhsa_user_sgpr_queue_ptr 0
		.amdhsa_user_sgpr_kernarg_segment_ptr 1
		.amdhsa_user_sgpr_dispatch_id 0
		.amdhsa_user_sgpr_kernarg_preload_length 0
		.amdhsa_user_sgpr_kernarg_preload_offset 0
		.amdhsa_user_sgpr_private_segment_size 0
		.amdhsa_uses_dynamic_stack 0
		.amdhsa_enable_private_segment 0
		.amdhsa_system_sgpr_workgroup_id_x 1
		.amdhsa_system_sgpr_workgroup_id_y 0
		.amdhsa_system_sgpr_workgroup_id_z 0
		.amdhsa_system_sgpr_workgroup_info 0
		.amdhsa_system_vgpr_workitem_id 0
		.amdhsa_next_free_vgpr 9
		.amdhsa_next_free_sgpr 21
		.amdhsa_accum_offset 12
		.amdhsa_reserve_vcc 1
		.amdhsa_float_round_mode_32 0
		.amdhsa_float_round_mode_16_64 0
		.amdhsa_float_denorm_mode_32 3
		.amdhsa_float_denorm_mode_16_64 3
		.amdhsa_dx10_clamp 1
		.amdhsa_ieee_mode 1
		.amdhsa_fp16_overflow 0
		.amdhsa_tg_split 0
		.amdhsa_exception_fp_ieee_invalid_op 0
		.amdhsa_exception_fp_denorm_src 0
		.amdhsa_exception_fp_ieee_div_zero 0
		.amdhsa_exception_fp_ieee_overflow 0
		.amdhsa_exception_fp_ieee_underflow 0
		.amdhsa_exception_fp_ieee_inexact 0
		.amdhsa_exception_int_div_zero 0
	.end_amdhsa_kernel
	.section	.text._Z6kernelI14exclusive_scanILN6hipcub18BlockScanAlgorithmE0EEhLj64ELj4ELj100EEvPKT0_PS4_S4_,"axG",@progbits,_Z6kernelI14exclusive_scanILN6hipcub18BlockScanAlgorithmE0EEhLj64ELj4ELj100EEvPKT0_PS4_S4_,comdat
.Lfunc_end182:
	.size	_Z6kernelI14exclusive_scanILN6hipcub18BlockScanAlgorithmE0EEhLj64ELj4ELj100EEvPKT0_PS4_S4_, .Lfunc_end182-_Z6kernelI14exclusive_scanILN6hipcub18BlockScanAlgorithmE0EEhLj64ELj4ELj100EEvPKT0_PS4_S4_
                                        ; -- End function
	.section	.AMDGPU.csdata,"",@progbits
; Kernel info:
; codeLenInByte = 568
; NumSgprs: 27
; NumVgprs: 9
; NumAgprs: 0
; TotalNumVgprs: 9
; ScratchSize: 0
; MemoryBound: 0
; FloatMode: 240
; IeeeMode: 1
; LDSByteSize: 1 bytes/workgroup (compile time only)
; SGPRBlocks: 3
; VGPRBlocks: 1
; NumSGPRsForWavesPerEU: 27
; NumVGPRsForWavesPerEU: 9
; AccumOffset: 12
; Occupancy: 8
; WaveLimiterHint : 0
; COMPUTE_PGM_RSRC2:SCRATCH_EN: 0
; COMPUTE_PGM_RSRC2:USER_SGPR: 2
; COMPUTE_PGM_RSRC2:TRAP_HANDLER: 0
; COMPUTE_PGM_RSRC2:TGID_X_EN: 1
; COMPUTE_PGM_RSRC2:TGID_Y_EN: 0
; COMPUTE_PGM_RSRC2:TGID_Z_EN: 0
; COMPUTE_PGM_RSRC2:TIDIG_COMP_CNT: 0
; COMPUTE_PGM_RSRC3_GFX90A:ACCUM_OFFSET: 2
; COMPUTE_PGM_RSRC3_GFX90A:TG_SPLIT: 0
	.section	.text._Z6kernelI14exclusive_scanILN6hipcub18BlockScanAlgorithmE0EEhLj64ELj8ELj100EEvPKT0_PS4_S4_,"axG",@progbits,_Z6kernelI14exclusive_scanILN6hipcub18BlockScanAlgorithmE0EEhLj64ELj8ELj100EEvPKT0_PS4_S4_,comdat
	.protected	_Z6kernelI14exclusive_scanILN6hipcub18BlockScanAlgorithmE0EEhLj64ELj8ELj100EEvPKT0_PS4_S4_ ; -- Begin function _Z6kernelI14exclusive_scanILN6hipcub18BlockScanAlgorithmE0EEhLj64ELj8ELj100EEvPKT0_PS4_S4_
	.globl	_Z6kernelI14exclusive_scanILN6hipcub18BlockScanAlgorithmE0EEhLj64ELj8ELj100EEvPKT0_PS4_S4_
	.p2align	8
	.type	_Z6kernelI14exclusive_scanILN6hipcub18BlockScanAlgorithmE0EEhLj64ELj8ELj100EEvPKT0_PS4_S4_,@function
_Z6kernelI14exclusive_scanILN6hipcub18BlockScanAlgorithmE0EEhLj64ELj8ELj100EEvPKT0_PS4_S4_: ; @_Z6kernelI14exclusive_scanILN6hipcub18BlockScanAlgorithmE0EEhLj64ELj8ELj100EEvPKT0_PS4_S4_
; %bb.0:
	s_load_dword s3, s[0:1], 0x24
	s_load_dwordx4 s[16:19], s[0:1], 0x0
	s_load_dword s20, s[0:1], 0x10
	v_mbcnt_lo_u32_b32 v1, -1, 0
	v_mbcnt_hi_u32_b32 v6, -1, v1
	s_waitcnt lgkmcnt(0)
	s_and_b32 s0, s3, 0xffff
	s_mul_i32 s2, s2, s0
	v_add_lshl_u32 v2, s2, v0, 3
	global_load_dwordx2 v[4:5], v2, s[16:17]
	v_and_b32_e32 v1, 15, v6
	v_cmp_eq_u32_e32 vcc, 0, v1
	v_cmp_lt_u32_e64 s[0:1], 1, v1
	v_cmp_lt_u32_e64 s[2:3], 3, v1
	;; [unrolled: 1-line block ×3, first 2 shown]
	v_and_b32_e32 v1, 16, v6
	v_cmp_eq_u32_e64 s[6:7], 0, v1
	v_add_u32_e32 v1, -1, v6
	v_and_b32_e32 v7, 64, v6
	v_cmp_lt_i32_e64 s[12:13], v1, v7
	v_cmp_eq_u32_e64 s[14:15], 0, v0
	v_mov_b32_e32 v3, 0
	v_cndmask_b32_e64 v1, v1, v6, s[12:13]
	v_cmp_eq_u32_e64 s[12:13], 0, v6
	v_cmp_lt_u32_e64 s[8:9], 31, v6
	v_cmp_eq_u32_e64 s[10:11], 63, v0
	v_lshlrev_b32_e32 v1, 2, v1
	s_or_b64 s[12:13], s[14:15], s[12:13]
	s_movk_i32 s16, 0x64
	v_mov_b32_e32 v0, s20
	s_branch .LBB183_2
.LBB183_1:                              ;   in Loop: Header=BB183_2 Depth=1
	s_or_b64 exec, exec, s[14:15]
	v_add_u16_e32 v8, s20, v8
	v_and_b32_e32 v8, 0xff, v8
	ds_bpermute_b32 v8, v1, v8
	s_add_i32 s16, s16, -1
	s_cmp_lg_u32 s16, 0
	s_waitcnt lgkmcnt(0)
	; wave barrier
	s_waitcnt lgkmcnt(0)
	v_cndmask_b32_e64 v8, v8, v0, s[12:13]
	v_add_u16_e32 v9, v8, v4
	v_add_u16_e32 v10, v9, v7
	v_lshlrev_b16_e32 v7, 8, v9
	v_add_u16_sdwa v9, v10, v4 dst_sel:DWORD dst_unused:UNUSED_PAD src0_sel:DWORD src1_sel:WORD_1
	v_or_b32_sdwa v7, v8, v7 dst_sel:DWORD dst_unused:UNUSED_PAD src0_sel:BYTE_0 src1_sel:DWORD
	v_add_u16_sdwa v8, v9, v4 dst_sel:DWORD dst_unused:UNUSED_PAD src0_sel:DWORD src1_sel:BYTE_3
	v_add_u16_e32 v11, v8, v5
	v_add_u16_e32 v12, v11, v6
	v_add_u16_sdwa v5, v12, v5 dst_sel:DWORD dst_unused:UNUSED_PAD src0_sel:DWORD src1_sel:WORD_1
	v_lshlrev_b16_e32 v4, 8, v9
	v_lshlrev_b16_e32 v9, 8, v11
	;; [unrolled: 1-line block ×3, first 2 shown]
	v_or_b32_sdwa v6, v10, v4 dst_sel:WORD_1 dst_unused:UNUSED_PAD src0_sel:BYTE_0 src1_sel:DWORD
	v_or_b32_sdwa v8, v8, v9 dst_sel:DWORD dst_unused:UNUSED_PAD src0_sel:BYTE_0 src1_sel:DWORD
	v_or_b32_sdwa v9, v12, v5 dst_sel:WORD_1 dst_unused:UNUSED_PAD src0_sel:BYTE_0 src1_sel:DWORD
	v_or_b32_sdwa v4, v7, v6 dst_sel:DWORD dst_unused:UNUSED_PAD src0_sel:WORD_0 src1_sel:DWORD
	v_or_b32_sdwa v5, v8, v9 dst_sel:DWORD dst_unused:UNUSED_PAD src0_sel:WORD_0 src1_sel:DWORD
	s_cbranch_scc0 .LBB183_4
.LBB183_2:                              ; =>This Inner Loop Header: Depth=1
	s_waitcnt vmcnt(0)
	v_lshrrev_b32_e32 v7, 8, v4
	v_add_u16_e32 v8, v7, v4
	v_add_u16_sdwa v8, v8, v4 dst_sel:DWORD dst_unused:UNUSED_PAD src0_sel:DWORD src1_sel:WORD_1
	v_add_u16_sdwa v8, v8, v4 dst_sel:DWORD dst_unused:UNUSED_PAD src0_sel:DWORD src1_sel:BYTE_3
	v_lshrrev_b32_e32 v6, 8, v5
	v_add_u16_e32 v8, v8, v5
	v_add_u16_e32 v8, v8, v6
	v_add_u16_sdwa v8, v8, v5 dst_sel:DWORD dst_unused:UNUSED_PAD src0_sel:DWORD src1_sel:WORD_1
	v_add_u16_sdwa v8, v8, v5 dst_sel:DWORD dst_unused:UNUSED_PAD src0_sel:DWORD src1_sel:BYTE_3
	v_and_b32_e32 v9, 0xff, v8
	s_nop 1
	v_mov_b32_dpp v9, v9 row_shr:1 row_mask:0xf bank_mask:0xf
	v_cndmask_b32_e64 v9, v9, 0, vcc
	v_add_u16_e32 v8, v8, v9
	v_and_b32_e32 v9, 0xff, v8
	s_nop 1
	v_mov_b32_dpp v9, v9 row_shr:2 row_mask:0xf bank_mask:0xf
	v_cndmask_b32_e64 v9, 0, v9, s[0:1]
	v_add_u16_e32 v8, v8, v9
	v_and_b32_e32 v9, 0xff, v8
	s_nop 1
	v_mov_b32_dpp v9, v9 row_shr:4 row_mask:0xf bank_mask:0xf
	v_cndmask_b32_e64 v9, 0, v9, s[2:3]
	;; [unrolled: 5-line block ×3, first 2 shown]
	v_add_u16_e32 v8, v8, v9
	v_and_b32_e32 v9, 0xff, v8
	s_nop 1
	v_mov_b32_dpp v9, v9 row_bcast:15 row_mask:0xf bank_mask:0xf
	v_cndmask_b32_e64 v9, v9, 0, s[6:7]
	v_add_u16_e32 v8, v8, v9
	v_and_b32_e32 v9, 0xff, v8
	s_nop 1
	v_mov_b32_dpp v9, v9 row_bcast:31 row_mask:0xf bank_mask:0xf
	v_cndmask_b32_e64 v9, 0, v9, s[8:9]
	v_add_u16_e32 v8, v8, v9
	s_and_saveexec_b64 s[14:15], s[10:11]
	s_cbranch_execz .LBB183_1
; %bb.3:                                ;   in Loop: Header=BB183_2 Depth=1
	ds_write_b8 v3, v8
	s_branch .LBB183_1
.LBB183_4:
	v_lshl_add_u64 v[0:1], s[18:19], 0, v[2:3]
	v_or_b32_sdwa v3, v8, v9 dst_sel:DWORD dst_unused:UNUSED_PAD src0_sel:WORD_0 src1_sel:DWORD
	v_or_b32_sdwa v2, v7, v6 dst_sel:DWORD dst_unused:UNUSED_PAD src0_sel:WORD_0 src1_sel:DWORD
	global_store_dwordx2 v[0:1], v[2:3], off
	s_endpgm
	.section	.rodata,"a",@progbits
	.p2align	6, 0x0
	.amdhsa_kernel _Z6kernelI14exclusive_scanILN6hipcub18BlockScanAlgorithmE0EEhLj64ELj8ELj100EEvPKT0_PS4_S4_
		.amdhsa_group_segment_fixed_size 1
		.amdhsa_private_segment_fixed_size 0
		.amdhsa_kernarg_size 280
		.amdhsa_user_sgpr_count 2
		.amdhsa_user_sgpr_dispatch_ptr 0
		.amdhsa_user_sgpr_queue_ptr 0
		.amdhsa_user_sgpr_kernarg_segment_ptr 1
		.amdhsa_user_sgpr_dispatch_id 0
		.amdhsa_user_sgpr_kernarg_preload_length 0
		.amdhsa_user_sgpr_kernarg_preload_offset 0
		.amdhsa_user_sgpr_private_segment_size 0
		.amdhsa_uses_dynamic_stack 0
		.amdhsa_enable_private_segment 0
		.amdhsa_system_sgpr_workgroup_id_x 1
		.amdhsa_system_sgpr_workgroup_id_y 0
		.amdhsa_system_sgpr_workgroup_id_z 0
		.amdhsa_system_sgpr_workgroup_info 0
		.amdhsa_system_vgpr_workitem_id 0
		.amdhsa_next_free_vgpr 13
		.amdhsa_next_free_sgpr 21
		.amdhsa_accum_offset 16
		.amdhsa_reserve_vcc 1
		.amdhsa_float_round_mode_32 0
		.amdhsa_float_round_mode_16_64 0
		.amdhsa_float_denorm_mode_32 3
		.amdhsa_float_denorm_mode_16_64 3
		.amdhsa_dx10_clamp 1
		.amdhsa_ieee_mode 1
		.amdhsa_fp16_overflow 0
		.amdhsa_tg_split 0
		.amdhsa_exception_fp_ieee_invalid_op 0
		.amdhsa_exception_fp_denorm_src 0
		.amdhsa_exception_fp_ieee_div_zero 0
		.amdhsa_exception_fp_ieee_overflow 0
		.amdhsa_exception_fp_ieee_underflow 0
		.amdhsa_exception_fp_ieee_inexact 0
		.amdhsa_exception_int_div_zero 0
	.end_amdhsa_kernel
	.section	.text._Z6kernelI14exclusive_scanILN6hipcub18BlockScanAlgorithmE0EEhLj64ELj8ELj100EEvPKT0_PS4_S4_,"axG",@progbits,_Z6kernelI14exclusive_scanILN6hipcub18BlockScanAlgorithmE0EEhLj64ELj8ELj100EEvPKT0_PS4_S4_,comdat
.Lfunc_end183:
	.size	_Z6kernelI14exclusive_scanILN6hipcub18BlockScanAlgorithmE0EEhLj64ELj8ELj100EEvPKT0_PS4_S4_, .Lfunc_end183-_Z6kernelI14exclusive_scanILN6hipcub18BlockScanAlgorithmE0EEhLj64ELj8ELj100EEvPKT0_PS4_S4_
                                        ; -- End function
	.section	.AMDGPU.csdata,"",@progbits
; Kernel info:
; codeLenInByte = 656
; NumSgprs: 27
; NumVgprs: 13
; NumAgprs: 0
; TotalNumVgprs: 13
; ScratchSize: 0
; MemoryBound: 0
; FloatMode: 240
; IeeeMode: 1
; LDSByteSize: 1 bytes/workgroup (compile time only)
; SGPRBlocks: 3
; VGPRBlocks: 1
; NumSGPRsForWavesPerEU: 27
; NumVGPRsForWavesPerEU: 13
; AccumOffset: 16
; Occupancy: 8
; WaveLimiterHint : 0
; COMPUTE_PGM_RSRC2:SCRATCH_EN: 0
; COMPUTE_PGM_RSRC2:USER_SGPR: 2
; COMPUTE_PGM_RSRC2:TRAP_HANDLER: 0
; COMPUTE_PGM_RSRC2:TGID_X_EN: 1
; COMPUTE_PGM_RSRC2:TGID_Y_EN: 0
; COMPUTE_PGM_RSRC2:TGID_Z_EN: 0
; COMPUTE_PGM_RSRC2:TIDIG_COMP_CNT: 0
; COMPUTE_PGM_RSRC3_GFX90A:ACCUM_OFFSET: 3
; COMPUTE_PGM_RSRC3_GFX90A:TG_SPLIT: 0
	.section	.text._Z6kernelI14exclusive_scanILN6hipcub18BlockScanAlgorithmE0EEhLj64ELj11ELj100EEvPKT0_PS4_S4_,"axG",@progbits,_Z6kernelI14exclusive_scanILN6hipcub18BlockScanAlgorithmE0EEhLj64ELj11ELj100EEvPKT0_PS4_S4_,comdat
	.protected	_Z6kernelI14exclusive_scanILN6hipcub18BlockScanAlgorithmE0EEhLj64ELj11ELj100EEvPKT0_PS4_S4_ ; -- Begin function _Z6kernelI14exclusive_scanILN6hipcub18BlockScanAlgorithmE0EEhLj64ELj11ELj100EEvPKT0_PS4_S4_
	.globl	_Z6kernelI14exclusive_scanILN6hipcub18BlockScanAlgorithmE0EEhLj64ELj11ELj100EEvPKT0_PS4_S4_
	.p2align	8
	.type	_Z6kernelI14exclusive_scanILN6hipcub18BlockScanAlgorithmE0EEhLj64ELj11ELj100EEvPKT0_PS4_S4_,@function
_Z6kernelI14exclusive_scanILN6hipcub18BlockScanAlgorithmE0EEhLj64ELj11ELj100EEvPKT0_PS4_S4_: ; @_Z6kernelI14exclusive_scanILN6hipcub18BlockScanAlgorithmE0EEhLj64ELj11ELj100EEvPKT0_PS4_S4_
; %bb.0:
	s_load_dword s3, s[0:1], 0x24
	s_load_dwordx4 s[16:19], s[0:1], 0x0
	s_load_dword s20, s[0:1], 0x10
	v_mbcnt_lo_u32_b32 v34, -1, 0
	v_mbcnt_hi_u32_b32 v34, -1, v34
	s_waitcnt lgkmcnt(0)
	s_and_b32 s0, s3, 0xffff
	s_mul_i32 s2, s2, s0
	v_add_u32_e32 v1, s2, v0
	v_mul_lo_u32 v2, v1, 11
	v_add_u32_e32 v6, 3, v2
	v_add_u32_e32 v4, 1, v2
	global_load_ubyte v26, v2, s[16:17]
	global_load_ubyte v27, v4, s[16:17]
	v_add_u32_e32 v8, 4, v2
	v_add_u32_e32 v10, 5, v2
	;; [unrolled: 1-line block ×4, first 2 shown]
	global_load_ubyte v28, v6, s[16:17]
	global_load_ubyte v29, v8, s[16:17]
	;; [unrolled: 1-line block ×5, first 2 shown]
	v_add_u32_e32 v22, 2, v2
	global_load_ubyte v33, v22, s[16:17]
	v_add_u32_e32 v16, 8, v2
	v_add_u32_e32 v18, 9, v2
	;; [unrolled: 1-line block ×3, first 2 shown]
	global_load_ubyte v1, v16, s[16:17]
	global_load_ubyte v24, v18, s[16:17]
	;; [unrolled: 1-line block ×3, first 2 shown]
	v_add_u32_e32 v36, -1, v34
	v_and_b32_e32 v37, 64, v34
	v_cmp_eq_u32_e32 vcc, 63, v0
	v_cmp_eq_u32_e64 s[12:13], 0, v0
	v_and_b32_e32 v0, 15, v34
	v_cmp_lt_i32_e64 s[16:17], v36, v37
	v_mov_b32_e32 v3, 0
	v_and_b32_e32 v35, 16, v34
	v_cmp_eq_u32_e64 s[14:15], 0, v34
	v_cmp_eq_u32_e64 s[2:3], 0, v0
	v_cmp_lt_u32_e64 s[4:5], 1, v0
	v_cmp_lt_u32_e64 s[6:7], 3, v0
	;; [unrolled: 1-line block ×3, first 2 shown]
	v_cndmask_b32_e64 v0, v36, v34, s[16:17]
	v_mov_b32_e32 v5, v3
	v_mov_b32_e32 v23, v3
	;; [unrolled: 1-line block ×10, first 2 shown]
	v_cmp_lt_u32_e64 s[0:1], 31, v34
	v_cmp_eq_u32_e64 s[10:11], 0, v35
	s_or_b64 s[12:13], s[12:13], s[14:15]
	v_lshlrev_b32_e32 v0, 2, v0
	s_movk_i32 s16, 0x64
	s_waitcnt vmcnt(9)
	v_lshlrev_b16_e32 v27, 8, v27
	s_waitcnt vmcnt(8)
	v_lshlrev_b16_e32 v28, 8, v28
	v_or_b32_e32 v26, v26, v27
	s_waitcnt vmcnt(6)
	v_lshlrev_b16_e32 v30, 8, v30
	s_waitcnt vmcnt(4)
	v_lshlrev_b16_e32 v32, 8, v32
	s_waitcnt vmcnt(3)
	v_or_b32_sdwa v27, v33, v28 dst_sel:WORD_1 dst_unused:UNUSED_PAD src0_sel:DWORD src1_sel:DWORD
	v_or_b32_e32 v28, v29, v30
	v_or_b32_sdwa v29, v31, v32 dst_sel:WORD_1 dst_unused:UNUSED_PAD src0_sel:DWORD src1_sel:DWORD
	v_or_b32_sdwa v26, v26, v27 dst_sel:DWORD dst_unused:UNUSED_PAD src0_sel:WORD_0 src1_sel:DWORD
	v_or_b32_sdwa v27, v28, v29 dst_sel:DWORD dst_unused:UNUSED_PAD src0_sel:WORD_0 src1_sel:DWORD
.LBB184_1:                              ; =>This Inner Loop Header: Depth=1
	v_lshrrev_b32_e32 v29, 8, v26
	v_add_u16_e32 v30, v29, v26
	v_add_u16_sdwa v30, v30, v26 dst_sel:DWORD dst_unused:UNUSED_PAD src0_sel:DWORD src1_sel:WORD_1
	v_add_u16_sdwa v30, v30, v26 dst_sel:DWORD dst_unused:UNUSED_PAD src0_sel:DWORD src1_sel:BYTE_3
	v_lshrrev_b32_e32 v28, 8, v27
	v_add_u16_e32 v30, v30, v27
	v_add_u16_e32 v30, v30, v28
	v_add_u16_sdwa v30, v30, v27 dst_sel:DWORD dst_unused:UNUSED_PAD src0_sel:DWORD src1_sel:WORD_1
	v_add_u16_sdwa v30, v30, v27 dst_sel:DWORD dst_unused:UNUSED_PAD src0_sel:DWORD src1_sel:BYTE_3
	s_waitcnt vmcnt(2)
	v_add_u16_e32 v30, v30, v1
	s_waitcnt vmcnt(1)
	v_add_u16_e32 v30, v30, v24
	;; [unrolled: 2-line block ×3, first 2 shown]
	v_and_b32_e32 v30, 0xff, v25
	s_nop 1
	v_mov_b32_dpp v30, v30 row_shr:1 row_mask:0xf bank_mask:0xf
	v_cndmask_b32_e64 v30, v30, 0, s[2:3]
	v_add_u16_e32 v25, v25, v30
	v_and_b32_e32 v30, 0xff, v25
	s_nop 1
	v_mov_b32_dpp v30, v30 row_shr:2 row_mask:0xf bank_mask:0xf
	v_cndmask_b32_e64 v30, 0, v30, s[4:5]
	v_add_u16_e32 v25, v25, v30
	;; [unrolled: 5-line block ×4, first 2 shown]
	v_and_b32_e32 v30, 0xff, v25
	s_nop 1
	v_mov_b32_dpp v30, v30 row_bcast:15 row_mask:0xf bank_mask:0xf
	v_cndmask_b32_e64 v30, v30, 0, s[10:11]
	v_add_u16_e32 v25, v25, v30
	v_and_b32_e32 v30, 0xff, v25
	s_nop 1
	v_mov_b32_dpp v30, v30 row_bcast:31 row_mask:0xf bank_mask:0xf
	v_cndmask_b32_e64 v30, 0, v30, s[0:1]
	v_add_u16_e32 v25, v25, v30
	s_and_saveexec_b64 s[14:15], vcc
	s_cbranch_execz .LBB184_3
; %bb.2:                                ;   in Loop: Header=BB184_1 Depth=1
	ds_write_b8 v3, v25
.LBB184_3:                              ;   in Loop: Header=BB184_1 Depth=1
	s_or_b64 exec, exec, s[14:15]
	v_add_u16_e32 v25, s20, v25
	v_and_b32_e32 v25, 0xff, v25
	ds_bpermute_b32 v25, v0, v25
	v_mov_b32_e32 v30, s20
	s_add_i32 s16, s16, -1
	s_cmp_lg_u32 s16, 0
	s_waitcnt lgkmcnt(0)
	v_cndmask_b32_e64 v32, v25, v30, s[12:13]
	v_add_u16_e32 v31, v32, v26
	v_add_u16_e32 v30, v31, v29
	v_add_u16_sdwa v37, v30, v26 dst_sel:DWORD dst_unused:UNUSED_PAD src0_sel:DWORD src1_sel:WORD_1
	v_add_u16_sdwa v36, v37, v26 dst_sel:DWORD dst_unused:UNUSED_PAD src0_sel:DWORD src1_sel:BYTE_3
	v_add_u16_e32 v35, v36, v27
	v_add_u16_e32 v34, v35, v28
	v_add_u16_sdwa v33, v34, v27 dst_sel:DWORD dst_unused:UNUSED_PAD src0_sel:DWORD src1_sel:WORD_1
	v_add_u16_sdwa v29, v33, v27 dst_sel:DWORD dst_unused:UNUSED_PAD src0_sel:DWORD src1_sel:BYTE_3
	v_add_u16_e32 v28, v29, v1
	v_lshlrev_b16_e32 v38, 8, v31
	v_add_u16_e32 v25, v28, v24
	v_lshlrev_b16_e32 v24, 8, v37
	v_or_b32_sdwa v1, v32, v38 dst_sel:DWORD dst_unused:UNUSED_PAD src0_sel:BYTE_0 src1_sel:DWORD
	v_or_b32_sdwa v24, v30, v24 dst_sel:WORD_1 dst_unused:UNUSED_PAD src0_sel:BYTE_0 src1_sel:DWORD
	; wave barrier
	s_nop 0
	v_or_b32_sdwa v26, v1, v24 dst_sel:DWORD dst_unused:UNUSED_PAD src0_sel:WORD_0 src1_sel:DWORD
	v_lshlrev_b16_e32 v1, 8, v35
	v_lshlrev_b16_e32 v24, 8, v33
	v_or_b32_sdwa v1, v36, v1 dst_sel:DWORD dst_unused:UNUSED_PAD src0_sel:BYTE_0 src1_sel:DWORD
	v_or_b32_sdwa v24, v34, v24 dst_sel:WORD_1 dst_unused:UNUSED_PAD src0_sel:BYTE_0 src1_sel:DWORD
	s_nop 0
	v_or_b32_sdwa v27, v1, v24 dst_sel:DWORD dst_unused:UNUSED_PAD src0_sel:WORD_0 src1_sel:DWORD
	s_cbranch_scc0 .LBB184_5
; %bb.4:                                ;   in Loop: Header=BB184_1 Depth=1
	v_mov_b32_e32 v1, v29
	v_mov_b32_e32 v24, v28
	s_branch .LBB184_1
.LBB184_5:
	v_lshl_add_u64 v[0:1], s[18:19], 0, v[2:3]
	global_store_byte v[0:1], v32, off
	v_lshl_add_u64 v[0:1], s[18:19], 0, v[4:5]
	global_store_byte v[0:1], v31, off
	;; [unrolled: 2-line block ×11, first 2 shown]
	s_endpgm
	.section	.rodata,"a",@progbits
	.p2align	6, 0x0
	.amdhsa_kernel _Z6kernelI14exclusive_scanILN6hipcub18BlockScanAlgorithmE0EEhLj64ELj11ELj100EEvPKT0_PS4_S4_
		.amdhsa_group_segment_fixed_size 1
		.amdhsa_private_segment_fixed_size 0
		.amdhsa_kernarg_size 280
		.amdhsa_user_sgpr_count 2
		.amdhsa_user_sgpr_dispatch_ptr 0
		.amdhsa_user_sgpr_queue_ptr 0
		.amdhsa_user_sgpr_kernarg_segment_ptr 1
		.amdhsa_user_sgpr_dispatch_id 0
		.amdhsa_user_sgpr_kernarg_preload_length 0
		.amdhsa_user_sgpr_kernarg_preload_offset 0
		.amdhsa_user_sgpr_private_segment_size 0
		.amdhsa_uses_dynamic_stack 0
		.amdhsa_enable_private_segment 0
		.amdhsa_system_sgpr_workgroup_id_x 1
		.amdhsa_system_sgpr_workgroup_id_y 0
		.amdhsa_system_sgpr_workgroup_id_z 0
		.amdhsa_system_sgpr_workgroup_info 0
		.amdhsa_system_vgpr_workitem_id 0
		.amdhsa_next_free_vgpr 39
		.amdhsa_next_free_sgpr 21
		.amdhsa_accum_offset 40
		.amdhsa_reserve_vcc 1
		.amdhsa_float_round_mode_32 0
		.amdhsa_float_round_mode_16_64 0
		.amdhsa_float_denorm_mode_32 3
		.amdhsa_float_denorm_mode_16_64 3
		.amdhsa_dx10_clamp 1
		.amdhsa_ieee_mode 1
		.amdhsa_fp16_overflow 0
		.amdhsa_tg_split 0
		.amdhsa_exception_fp_ieee_invalid_op 0
		.amdhsa_exception_fp_denorm_src 0
		.amdhsa_exception_fp_ieee_div_zero 0
		.amdhsa_exception_fp_ieee_overflow 0
		.amdhsa_exception_fp_ieee_underflow 0
		.amdhsa_exception_fp_ieee_inexact 0
		.amdhsa_exception_int_div_zero 0
	.end_amdhsa_kernel
	.section	.text._Z6kernelI14exclusive_scanILN6hipcub18BlockScanAlgorithmE0EEhLj64ELj11ELj100EEvPKT0_PS4_S4_,"axG",@progbits,_Z6kernelI14exclusive_scanILN6hipcub18BlockScanAlgorithmE0EEhLj64ELj11ELj100EEvPKT0_PS4_S4_,comdat
.Lfunc_end184:
	.size	_Z6kernelI14exclusive_scanILN6hipcub18BlockScanAlgorithmE0EEhLj64ELj11ELj100EEvPKT0_PS4_S4_, .Lfunc_end184-_Z6kernelI14exclusive_scanILN6hipcub18BlockScanAlgorithmE0EEhLj64ELj11ELj100EEvPKT0_PS4_S4_
                                        ; -- End function
	.section	.AMDGPU.csdata,"",@progbits
; Kernel info:
; codeLenInByte = 1084
; NumSgprs: 27
; NumVgprs: 39
; NumAgprs: 0
; TotalNumVgprs: 39
; ScratchSize: 0
; MemoryBound: 0
; FloatMode: 240
; IeeeMode: 1
; LDSByteSize: 1 bytes/workgroup (compile time only)
; SGPRBlocks: 3
; VGPRBlocks: 4
; NumSGPRsForWavesPerEU: 27
; NumVGPRsForWavesPerEU: 39
; AccumOffset: 40
; Occupancy: 8
; WaveLimiterHint : 0
; COMPUTE_PGM_RSRC2:SCRATCH_EN: 0
; COMPUTE_PGM_RSRC2:USER_SGPR: 2
; COMPUTE_PGM_RSRC2:TRAP_HANDLER: 0
; COMPUTE_PGM_RSRC2:TGID_X_EN: 1
; COMPUTE_PGM_RSRC2:TGID_Y_EN: 0
; COMPUTE_PGM_RSRC2:TGID_Z_EN: 0
; COMPUTE_PGM_RSRC2:TIDIG_COMP_CNT: 0
; COMPUTE_PGM_RSRC3_GFX90A:ACCUM_OFFSET: 9
; COMPUTE_PGM_RSRC3_GFX90A:TG_SPLIT: 0
	.section	.text._Z6kernelI14exclusive_scanILN6hipcub18BlockScanAlgorithmE0EEhLj64ELj16ELj100EEvPKT0_PS4_S4_,"axG",@progbits,_Z6kernelI14exclusive_scanILN6hipcub18BlockScanAlgorithmE0EEhLj64ELj16ELj100EEvPKT0_PS4_S4_,comdat
	.protected	_Z6kernelI14exclusive_scanILN6hipcub18BlockScanAlgorithmE0EEhLj64ELj16ELj100EEvPKT0_PS4_S4_ ; -- Begin function _Z6kernelI14exclusive_scanILN6hipcub18BlockScanAlgorithmE0EEhLj64ELj16ELj100EEvPKT0_PS4_S4_
	.globl	_Z6kernelI14exclusive_scanILN6hipcub18BlockScanAlgorithmE0EEhLj64ELj16ELj100EEvPKT0_PS4_S4_
	.p2align	8
	.type	_Z6kernelI14exclusive_scanILN6hipcub18BlockScanAlgorithmE0EEhLj64ELj16ELj100EEvPKT0_PS4_S4_,@function
_Z6kernelI14exclusive_scanILN6hipcub18BlockScanAlgorithmE0EEhLj64ELj16ELj100EEvPKT0_PS4_S4_: ; @_Z6kernelI14exclusive_scanILN6hipcub18BlockScanAlgorithmE0EEhLj64ELj16ELj100EEvPKT0_PS4_S4_
; %bb.0:
	s_load_dword s3, s[0:1], 0x24
	s_load_dwordx4 s[16:19], s[0:1], 0x0
	s_load_dword s20, s[0:1], 0x10
	v_mbcnt_lo_u32_b32 v1, -1, 0
	v_mbcnt_hi_u32_b32 v8, -1, v1
	s_waitcnt lgkmcnt(0)
	s_and_b32 s0, s3, 0xffff
	s_mul_i32 s2, s2, s0
	v_add_lshl_u32 v6, s2, v0, 4
	global_load_dwordx4 v[2:5], v6, s[16:17]
	v_and_b32_e32 v1, 15, v8
	v_cmp_eq_u32_e32 vcc, 0, v1
	v_cmp_lt_u32_e64 s[0:1], 1, v1
	v_cmp_lt_u32_e64 s[2:3], 3, v1
	;; [unrolled: 1-line block ×3, first 2 shown]
	v_and_b32_e32 v1, 16, v8
	v_cmp_eq_u32_e64 s[6:7], 0, v1
	v_add_u32_e32 v1, -1, v8
	v_and_b32_e32 v9, 64, v8
	v_cmp_lt_i32_e64 s[12:13], v1, v9
	v_cmp_eq_u32_e64 s[14:15], 0, v0
	v_mov_b32_e32 v7, 0
	v_cndmask_b32_e64 v1, v1, v8, s[12:13]
	v_cmp_eq_u32_e64 s[12:13], 0, v8
	v_cmp_lt_u32_e64 s[8:9], 31, v8
	v_cmp_eq_u32_e64 s[10:11], 63, v0
	v_lshlrev_b32_e32 v1, 2, v1
	s_or_b64 s[12:13], s[14:15], s[12:13]
	s_movk_i32 s16, 0x64
	v_mov_b32_e32 v0, s20
	s_branch .LBB185_2
.LBB185_1:                              ;   in Loop: Header=BB185_2 Depth=1
	s_or_b64 exec, exec, s[14:15]
	v_add_u16_e32 v12, s20, v12
	v_and_b32_e32 v12, 0xff, v12
	ds_bpermute_b32 v12, v1, v12
	s_add_i32 s16, s16, -1
	s_cmp_lg_u32 s16, 0
	s_waitcnt lgkmcnt(0)
	; wave barrier
	s_waitcnt lgkmcnt(0)
	v_cndmask_b32_e64 v12, v12, v0, s[12:13]
	v_add_u16_e32 v13, v12, v2
	v_add_u16_e32 v14, v13, v11
	v_lshlrev_b16_e32 v11, 8, v13
	v_add_u16_sdwa v13, v14, v2 dst_sel:DWORD dst_unused:UNUSED_PAD src0_sel:DWORD src1_sel:WORD_1
	v_or_b32_sdwa v11, v12, v11 dst_sel:DWORD dst_unused:UNUSED_PAD src0_sel:BYTE_0 src1_sel:DWORD
	v_add_u16_sdwa v12, v13, v2 dst_sel:DWORD dst_unused:UNUSED_PAD src0_sel:DWORD src1_sel:BYTE_3
	v_add_u16_e32 v15, v12, v3
	v_add_u16_e32 v16, v15, v9
	v_add_u16_sdwa v17, v16, v3 dst_sel:DWORD dst_unused:UNUSED_PAD src0_sel:DWORD src1_sel:WORD_1
	v_add_u16_sdwa v18, v17, v3 dst_sel:DWORD dst_unused:UNUSED_PAD src0_sel:DWORD src1_sel:BYTE_3
	v_add_u16_e32 v19, v18, v4
	v_add_u16_e32 v20, v19, v10
	v_add_u16_sdwa v21, v20, v4 dst_sel:DWORD dst_unused:UNUSED_PAD src0_sel:DWORD src1_sel:WORD_1
	v_add_u16_sdwa v22, v21, v4 dst_sel:DWORD dst_unused:UNUSED_PAD src0_sel:DWORD src1_sel:BYTE_3
	v_add_u16_e32 v23, v22, v5
	v_add_u16_e32 v24, v23, v8
	v_add_u16_sdwa v5, v24, v5 dst_sel:DWORD dst_unused:UNUSED_PAD src0_sel:DWORD src1_sel:WORD_1
	v_lshlrev_b16_e32 v2, 8, v13
	v_lshlrev_b16_e32 v3, 8, v15
	;; [unrolled: 1-line block ×3, first 2 shown]
	v_or_b32_sdwa v8, v14, v2 dst_sel:WORD_1 dst_unused:UNUSED_PAD src0_sel:BYTE_0 src1_sel:DWORD
	v_or_b32_sdwa v9, v12, v3 dst_sel:DWORD dst_unused:UNUSED_PAD src0_sel:BYTE_0 src1_sel:DWORD
	v_lshlrev_b16_e32 v3, 8, v17
	v_or_b32_sdwa v12, v18, v4 dst_sel:DWORD dst_unused:UNUSED_PAD src0_sel:BYTE_0 src1_sel:DWORD
	v_lshlrev_b16_e32 v4, 8, v21
	v_lshlrev_b16_e32 v14, 8, v23
	;; [unrolled: 1-line block ×3, first 2 shown]
	v_or_b32_sdwa v10, v16, v3 dst_sel:WORD_1 dst_unused:UNUSED_PAD src0_sel:BYTE_0 src1_sel:DWORD
	v_or_b32_sdwa v13, v20, v4 dst_sel:WORD_1 dst_unused:UNUSED_PAD src0_sel:BYTE_0 src1_sel:DWORD
	v_or_b32_sdwa v14, v22, v14 dst_sel:DWORD dst_unused:UNUSED_PAD src0_sel:BYTE_0 src1_sel:DWORD
	v_or_b32_sdwa v15, v24, v5 dst_sel:WORD_1 dst_unused:UNUSED_PAD src0_sel:BYTE_0 src1_sel:DWORD
	v_or_b32_sdwa v2, v11, v8 dst_sel:DWORD dst_unused:UNUSED_PAD src0_sel:WORD_0 src1_sel:DWORD
	v_or_b32_sdwa v3, v9, v10 dst_sel:DWORD dst_unused:UNUSED_PAD src0_sel:WORD_0 src1_sel:DWORD
	;; [unrolled: 1-line block ×4, first 2 shown]
	s_cbranch_scc0 .LBB185_4
.LBB185_2:                              ; =>This Inner Loop Header: Depth=1
	s_waitcnt vmcnt(0)
	v_lshrrev_b32_e32 v11, 8, v2
	v_add_u16_e32 v10, v11, v2
	v_add_u16_sdwa v10, v10, v2 dst_sel:DWORD dst_unused:UNUSED_PAD src0_sel:DWORD src1_sel:WORD_1
	v_add_u16_sdwa v10, v10, v2 dst_sel:DWORD dst_unused:UNUSED_PAD src0_sel:DWORD src1_sel:BYTE_3
	v_lshrrev_b32_e32 v9, 8, v3
	v_add_u16_e32 v10, v10, v3
	v_add_u16_e32 v10, v10, v9
	v_add_u16_sdwa v10, v10, v3 dst_sel:DWORD dst_unused:UNUSED_PAD src0_sel:DWORD src1_sel:WORD_1
	v_add_u16_sdwa v10, v10, v3 dst_sel:DWORD dst_unused:UNUSED_PAD src0_sel:DWORD src1_sel:BYTE_3
	v_add_u16_e32 v12, v10, v4
	v_lshrrev_b32_e32 v10, 8, v4
	v_add_u16_e32 v12, v12, v10
	v_add_u16_sdwa v12, v12, v4 dst_sel:DWORD dst_unused:UNUSED_PAD src0_sel:DWORD src1_sel:WORD_1
	v_add_u16_sdwa v12, v12, v4 dst_sel:DWORD dst_unused:UNUSED_PAD src0_sel:DWORD src1_sel:BYTE_3
	v_lshrrev_b32_e32 v8, 8, v5
	v_add_u16_e32 v12, v12, v5
	v_add_u16_e32 v12, v12, v8
	v_add_u16_sdwa v12, v12, v5 dst_sel:DWORD dst_unused:UNUSED_PAD src0_sel:DWORD src1_sel:WORD_1
	v_add_u16_sdwa v12, v12, v5 dst_sel:DWORD dst_unused:UNUSED_PAD src0_sel:DWORD src1_sel:BYTE_3
	v_and_b32_e32 v13, 0xff, v12
	s_nop 1
	v_mov_b32_dpp v13, v13 row_shr:1 row_mask:0xf bank_mask:0xf
	v_cndmask_b32_e64 v13, v13, 0, vcc
	v_add_u16_e32 v12, v12, v13
	v_and_b32_e32 v13, 0xff, v12
	s_nop 1
	v_mov_b32_dpp v13, v13 row_shr:2 row_mask:0xf bank_mask:0xf
	v_cndmask_b32_e64 v13, 0, v13, s[0:1]
	v_add_u16_e32 v12, v12, v13
	v_and_b32_e32 v13, 0xff, v12
	s_nop 1
	v_mov_b32_dpp v13, v13 row_shr:4 row_mask:0xf bank_mask:0xf
	v_cndmask_b32_e64 v13, 0, v13, s[2:3]
	;; [unrolled: 5-line block ×3, first 2 shown]
	v_add_u16_e32 v12, v12, v13
	v_and_b32_e32 v13, 0xff, v12
	s_nop 1
	v_mov_b32_dpp v13, v13 row_bcast:15 row_mask:0xf bank_mask:0xf
	v_cndmask_b32_e64 v13, v13, 0, s[6:7]
	v_add_u16_e32 v12, v12, v13
	v_and_b32_e32 v13, 0xff, v12
	s_nop 1
	v_mov_b32_dpp v13, v13 row_bcast:31 row_mask:0xf bank_mask:0xf
	v_cndmask_b32_e64 v13, 0, v13, s[8:9]
	v_add_u16_e32 v12, v12, v13
	s_and_saveexec_b64 s[14:15], s[10:11]
	s_cbranch_execz .LBB185_1
; %bb.3:                                ;   in Loop: Header=BB185_2 Depth=1
	ds_write_b8 v7, v12
	s_branch .LBB185_1
.LBB185_4:
	v_lshl_add_u64 v[4:5], s[18:19], 0, v[6:7]
	v_or_b32_sdwa v3, v14, v15 dst_sel:DWORD dst_unused:UNUSED_PAD src0_sel:WORD_0 src1_sel:DWORD
	v_or_b32_sdwa v2, v12, v13 dst_sel:DWORD dst_unused:UNUSED_PAD src0_sel:WORD_0 src1_sel:DWORD
	;; [unrolled: 1-line block ×4, first 2 shown]
	global_store_dwordx4 v[4:5], v[0:3], off
	s_endpgm
	.section	.rodata,"a",@progbits
	.p2align	6, 0x0
	.amdhsa_kernel _Z6kernelI14exclusive_scanILN6hipcub18BlockScanAlgorithmE0EEhLj64ELj16ELj100EEvPKT0_PS4_S4_
		.amdhsa_group_segment_fixed_size 1
		.amdhsa_private_segment_fixed_size 0
		.amdhsa_kernarg_size 280
		.amdhsa_user_sgpr_count 2
		.amdhsa_user_sgpr_dispatch_ptr 0
		.amdhsa_user_sgpr_queue_ptr 0
		.amdhsa_user_sgpr_kernarg_segment_ptr 1
		.amdhsa_user_sgpr_dispatch_id 0
		.amdhsa_user_sgpr_kernarg_preload_length 0
		.amdhsa_user_sgpr_kernarg_preload_offset 0
		.amdhsa_user_sgpr_private_segment_size 0
		.amdhsa_uses_dynamic_stack 0
		.amdhsa_enable_private_segment 0
		.amdhsa_system_sgpr_workgroup_id_x 1
		.amdhsa_system_sgpr_workgroup_id_y 0
		.amdhsa_system_sgpr_workgroup_id_z 0
		.amdhsa_system_sgpr_workgroup_info 0
		.amdhsa_system_vgpr_workitem_id 0
		.amdhsa_next_free_vgpr 25
		.amdhsa_next_free_sgpr 21
		.amdhsa_accum_offset 28
		.amdhsa_reserve_vcc 1
		.amdhsa_float_round_mode_32 0
		.amdhsa_float_round_mode_16_64 0
		.amdhsa_float_denorm_mode_32 3
		.amdhsa_float_denorm_mode_16_64 3
		.amdhsa_dx10_clamp 1
		.amdhsa_ieee_mode 1
		.amdhsa_fp16_overflow 0
		.amdhsa_tg_split 0
		.amdhsa_exception_fp_ieee_invalid_op 0
		.amdhsa_exception_fp_denorm_src 0
		.amdhsa_exception_fp_ieee_div_zero 0
		.amdhsa_exception_fp_ieee_overflow 0
		.amdhsa_exception_fp_ieee_underflow 0
		.amdhsa_exception_fp_ieee_inexact 0
		.amdhsa_exception_int_div_zero 0
	.end_amdhsa_kernel
	.section	.text._Z6kernelI14exclusive_scanILN6hipcub18BlockScanAlgorithmE0EEhLj64ELj16ELj100EEvPKT0_PS4_S4_,"axG",@progbits,_Z6kernelI14exclusive_scanILN6hipcub18BlockScanAlgorithmE0EEhLj64ELj16ELj100EEvPKT0_PS4_S4_,comdat
.Lfunc_end185:
	.size	_Z6kernelI14exclusive_scanILN6hipcub18BlockScanAlgorithmE0EEhLj64ELj16ELj100EEvPKT0_PS4_S4_, .Lfunc_end185-_Z6kernelI14exclusive_scanILN6hipcub18BlockScanAlgorithmE0EEhLj64ELj16ELj100EEvPKT0_PS4_S4_
                                        ; -- End function
	.section	.AMDGPU.csdata,"",@progbits
; Kernel info:
; codeLenInByte = 840
; NumSgprs: 27
; NumVgprs: 25
; NumAgprs: 0
; TotalNumVgprs: 25
; ScratchSize: 0
; MemoryBound: 0
; FloatMode: 240
; IeeeMode: 1
; LDSByteSize: 1 bytes/workgroup (compile time only)
; SGPRBlocks: 3
; VGPRBlocks: 3
; NumSGPRsForWavesPerEU: 27
; NumVGPRsForWavesPerEU: 25
; AccumOffset: 28
; Occupancy: 8
; WaveLimiterHint : 0
; COMPUTE_PGM_RSRC2:SCRATCH_EN: 0
; COMPUTE_PGM_RSRC2:USER_SGPR: 2
; COMPUTE_PGM_RSRC2:TRAP_HANDLER: 0
; COMPUTE_PGM_RSRC2:TGID_X_EN: 1
; COMPUTE_PGM_RSRC2:TGID_Y_EN: 0
; COMPUTE_PGM_RSRC2:TGID_Z_EN: 0
; COMPUTE_PGM_RSRC2:TIDIG_COMP_CNT: 0
; COMPUTE_PGM_RSRC3_GFX90A:ACCUM_OFFSET: 6
; COMPUTE_PGM_RSRC3_GFX90A:TG_SPLIT: 0
	.section	.text._Z6kernelI14exclusive_scanILN6hipcub18BlockScanAlgorithmE0EEiLj256ELj1ELj100EEvPKT0_PS4_S4_,"axG",@progbits,_Z6kernelI14exclusive_scanILN6hipcub18BlockScanAlgorithmE0EEiLj256ELj1ELj100EEvPKT0_PS4_S4_,comdat
	.protected	_Z6kernelI14exclusive_scanILN6hipcub18BlockScanAlgorithmE0EEiLj256ELj1ELj100EEvPKT0_PS4_S4_ ; -- Begin function _Z6kernelI14exclusive_scanILN6hipcub18BlockScanAlgorithmE0EEiLj256ELj1ELj100EEvPKT0_PS4_S4_
	.globl	_Z6kernelI14exclusive_scanILN6hipcub18BlockScanAlgorithmE0EEiLj256ELj1ELj100EEvPKT0_PS4_S4_
	.p2align	8
	.type	_Z6kernelI14exclusive_scanILN6hipcub18BlockScanAlgorithmE0EEiLj256ELj1ELj100EEvPKT0_PS4_S4_,@function
_Z6kernelI14exclusive_scanILN6hipcub18BlockScanAlgorithmE0EEiLj256ELj1ELj100EEvPKT0_PS4_S4_: ; @_Z6kernelI14exclusive_scanILN6hipcub18BlockScanAlgorithmE0EEiLj256ELj1ELj100EEvPKT0_PS4_S4_
; %bb.0:
	s_load_dwordx4 s[20:23], s[0:1], 0x0
	s_load_dword s3, s[0:1], 0x24
	s_load_dword s26, s[0:1], 0x10
	v_mov_b32_e32 v3, 0
	v_mbcnt_lo_u32_b32 v1, -1, 0
	s_waitcnt lgkmcnt(0)
	v_mov_b32_e32 v4, s20
	s_and_b32 s0, s3, 0xffff
	s_mul_i32 s2, s2, s0
	v_mov_b32_e32 v5, s21
	v_add_u32_e32 v2, s2, v0
	v_lshl_add_u64 v[4:5], v[2:3], 2, v[4:5]
	global_load_dword v6, v[4:5], off
	v_mbcnt_hi_u32_b32 v5, -1, v1
	v_and_b32_e32 v1, 15, v5
	v_cmp_eq_u32_e32 vcc, 0, v1
	v_cmp_lt_u32_e64 s[0:1], 1, v1
	v_cmp_lt_u32_e64 s[2:3], 3, v1
	;; [unrolled: 1-line block ×3, first 2 shown]
	v_and_b32_e32 v1, 16, v5
	v_cmp_eq_u32_e64 s[6:7], 0, v1
	v_or_b32_e32 v1, 63, v0
	v_cmp_eq_u32_e64 s[10:11], v1, v0
	v_add_u32_e32 v1, -1, v5
	v_and_b32_e32 v4, 64, v5
	v_cmp_lt_i32_e64 s[16:17], v1, v4
	v_lshrrev_b32_e32 v4, 4, v0
	v_cmp_lt_u32_e64 s[8:9], 31, v5
	v_cndmask_b32_e64 v1, v1, v5, s[16:17]
	v_cmp_eq_u32_e64 s[16:17], 0, v5
	v_and_b32_e32 v4, 12, v4
	v_and_b32_e32 v5, 3, v5
	v_cmp_gt_u32_e64 s[12:13], 4, v0
	v_cmp_lt_u32_e64 s[14:15], 63, v0
	v_lshlrev_b32_e32 v1, 2, v1
	v_lshlrev_b32_e32 v0, 2, v0
	v_cmp_eq_u32_e64 s[18:19], 0, v5
	v_cmp_lt_u32_e64 s[20:21], 1, v5
	v_add_u32_e32 v5, -4, v4
	s_movk_i32 s27, 0x64
	s_branch .LBB186_2
.LBB186_1:                              ;   in Loop: Header=BB186_2 Depth=1
	s_or_b64 exec, exec, s[24:25]
	v_add_u32_e32 v6, v7, v6
	ds_bpermute_b32 v6, v1, v6
	s_add_i32 s27, s27, -1
	s_cmp_lg_u32 s27, 0
	s_waitcnt lgkmcnt(0)
	v_cndmask_b32_e64 v6, v6, v7, s[16:17]
	s_cbranch_scc0 .LBB186_8
.LBB186_2:                              ; =>This Inner Loop Header: Depth=1
	s_waitcnt vmcnt(0)
	v_mov_b32_dpp v7, v6 row_shr:1 row_mask:0xf bank_mask:0xf
	v_cndmask_b32_e64 v7, v7, 0, vcc
	v_add_u32_e32 v6, v7, v6
	s_nop 1
	v_mov_b32_dpp v7, v6 row_shr:2 row_mask:0xf bank_mask:0xf
	v_cndmask_b32_e64 v7, 0, v7, s[0:1]
	v_add_u32_e32 v6, v6, v7
	s_nop 1
	v_mov_b32_dpp v7, v6 row_shr:4 row_mask:0xf bank_mask:0xf
	v_cndmask_b32_e64 v7, 0, v7, s[2:3]
	;; [unrolled: 4-line block ×3, first 2 shown]
	v_add_u32_e32 v6, v6, v7
	s_nop 1
	v_mov_b32_dpp v7, v6 row_bcast:15 row_mask:0xf bank_mask:0xf
	v_cndmask_b32_e64 v7, v7, 0, s[6:7]
	v_add_u32_e32 v6, v6, v7
	s_nop 1
	v_mov_b32_dpp v7, v6 row_bcast:31 row_mask:0xf bank_mask:0xf
	v_cndmask_b32_e64 v7, 0, v7, s[8:9]
	v_add_u32_e32 v6, v6, v7
	s_and_saveexec_b64 s[24:25], s[10:11]
	s_cbranch_execz .LBB186_4
; %bb.3:                                ;   in Loop: Header=BB186_2 Depth=1
	ds_write_b32 v4, v6
.LBB186_4:                              ;   in Loop: Header=BB186_2 Depth=1
	s_or_b64 exec, exec, s[24:25]
	s_waitcnt lgkmcnt(0)
	s_barrier
	s_and_saveexec_b64 s[24:25], s[12:13]
	s_cbranch_execz .LBB186_6
; %bb.5:                                ;   in Loop: Header=BB186_2 Depth=1
	ds_read_b32 v7, v0
	s_waitcnt lgkmcnt(0)
	s_nop 0
	v_mov_b32_dpp v8, v7 row_shr:1 row_mask:0xf bank_mask:0xf
	v_cndmask_b32_e64 v8, v8, 0, s[18:19]
	v_add_u32_e32 v7, v8, v7
	s_nop 1
	v_mov_b32_dpp v8, v7 row_shr:2 row_mask:0xf bank_mask:0xf
	v_cndmask_b32_e64 v8, 0, v8, s[20:21]
	v_add_u32_e32 v7, v7, v8
	ds_write_b32 v0, v7
.LBB186_6:                              ;   in Loop: Header=BB186_2 Depth=1
	s_or_b64 exec, exec, s[24:25]
	v_mov_b32_e32 v7, s26
	s_waitcnt lgkmcnt(0)
	s_barrier
	s_and_saveexec_b64 s[24:25], s[14:15]
	s_cbranch_execz .LBB186_1
; %bb.7:                                ;   in Loop: Header=BB186_2 Depth=1
	ds_read_b32 v7, v5
	s_waitcnt lgkmcnt(0)
	v_add_u32_e32 v7, s26, v7
	s_branch .LBB186_1
.LBB186_8:
	v_mov_b32_e32 v0, s22
	v_mov_b32_e32 v1, s23
	v_lshl_add_u64 v[0:1], v[2:3], 2, v[0:1]
	global_store_dword v[0:1], v6, off
	s_endpgm
	.section	.rodata,"a",@progbits
	.p2align	6, 0x0
	.amdhsa_kernel _Z6kernelI14exclusive_scanILN6hipcub18BlockScanAlgorithmE0EEiLj256ELj1ELj100EEvPKT0_PS4_S4_
		.amdhsa_group_segment_fixed_size 16
		.amdhsa_private_segment_fixed_size 0
		.amdhsa_kernarg_size 280
		.amdhsa_user_sgpr_count 2
		.amdhsa_user_sgpr_dispatch_ptr 0
		.amdhsa_user_sgpr_queue_ptr 0
		.amdhsa_user_sgpr_kernarg_segment_ptr 1
		.amdhsa_user_sgpr_dispatch_id 0
		.amdhsa_user_sgpr_kernarg_preload_length 0
		.amdhsa_user_sgpr_kernarg_preload_offset 0
		.amdhsa_user_sgpr_private_segment_size 0
		.amdhsa_uses_dynamic_stack 0
		.amdhsa_enable_private_segment 0
		.amdhsa_system_sgpr_workgroup_id_x 1
		.amdhsa_system_sgpr_workgroup_id_y 0
		.amdhsa_system_sgpr_workgroup_id_z 0
		.amdhsa_system_sgpr_workgroup_info 0
		.amdhsa_system_vgpr_workitem_id 0
		.amdhsa_next_free_vgpr 9
		.amdhsa_next_free_sgpr 28
		.amdhsa_accum_offset 12
		.amdhsa_reserve_vcc 1
		.amdhsa_float_round_mode_32 0
		.amdhsa_float_round_mode_16_64 0
		.amdhsa_float_denorm_mode_32 3
		.amdhsa_float_denorm_mode_16_64 3
		.amdhsa_dx10_clamp 1
		.amdhsa_ieee_mode 1
		.amdhsa_fp16_overflow 0
		.amdhsa_tg_split 0
		.amdhsa_exception_fp_ieee_invalid_op 0
		.amdhsa_exception_fp_denorm_src 0
		.amdhsa_exception_fp_ieee_div_zero 0
		.amdhsa_exception_fp_ieee_overflow 0
		.amdhsa_exception_fp_ieee_underflow 0
		.amdhsa_exception_fp_ieee_inexact 0
		.amdhsa_exception_int_div_zero 0
	.end_amdhsa_kernel
	.section	.text._Z6kernelI14exclusive_scanILN6hipcub18BlockScanAlgorithmE0EEiLj256ELj1ELj100EEvPKT0_PS4_S4_,"axG",@progbits,_Z6kernelI14exclusive_scanILN6hipcub18BlockScanAlgorithmE0EEiLj256ELj1ELj100EEvPKT0_PS4_S4_,comdat
.Lfunc_end186:
	.size	_Z6kernelI14exclusive_scanILN6hipcub18BlockScanAlgorithmE0EEiLj256ELj1ELj100EEvPKT0_PS4_S4_, .Lfunc_end186-_Z6kernelI14exclusive_scanILN6hipcub18BlockScanAlgorithmE0EEiLj256ELj1ELj100EEvPKT0_PS4_S4_
                                        ; -- End function
	.section	.AMDGPU.csdata,"",@progbits
; Kernel info:
; codeLenInByte = 608
; NumSgprs: 34
; NumVgprs: 9
; NumAgprs: 0
; TotalNumVgprs: 9
; ScratchSize: 0
; MemoryBound: 0
; FloatMode: 240
; IeeeMode: 1
; LDSByteSize: 16 bytes/workgroup (compile time only)
; SGPRBlocks: 4
; VGPRBlocks: 1
; NumSGPRsForWavesPerEU: 34
; NumVGPRsForWavesPerEU: 9
; AccumOffset: 12
; Occupancy: 8
; WaveLimiterHint : 0
; COMPUTE_PGM_RSRC2:SCRATCH_EN: 0
; COMPUTE_PGM_RSRC2:USER_SGPR: 2
; COMPUTE_PGM_RSRC2:TRAP_HANDLER: 0
; COMPUTE_PGM_RSRC2:TGID_X_EN: 1
; COMPUTE_PGM_RSRC2:TGID_Y_EN: 0
; COMPUTE_PGM_RSRC2:TGID_Z_EN: 0
; COMPUTE_PGM_RSRC2:TIDIG_COMP_CNT: 0
; COMPUTE_PGM_RSRC3_GFX90A:ACCUM_OFFSET: 2
; COMPUTE_PGM_RSRC3_GFX90A:TG_SPLIT: 0
	.section	.text._Z6kernelI14exclusive_scanILN6hipcub18BlockScanAlgorithmE0EEiLj256ELj3ELj100EEvPKT0_PS4_S4_,"axG",@progbits,_Z6kernelI14exclusive_scanILN6hipcub18BlockScanAlgorithmE0EEiLj256ELj3ELj100EEvPKT0_PS4_S4_,comdat
	.protected	_Z6kernelI14exclusive_scanILN6hipcub18BlockScanAlgorithmE0EEiLj256ELj3ELj100EEvPKT0_PS4_S4_ ; -- Begin function _Z6kernelI14exclusive_scanILN6hipcub18BlockScanAlgorithmE0EEiLj256ELj3ELj100EEvPKT0_PS4_S4_
	.globl	_Z6kernelI14exclusive_scanILN6hipcub18BlockScanAlgorithmE0EEiLj256ELj3ELj100EEvPKT0_PS4_S4_
	.p2align	8
	.type	_Z6kernelI14exclusive_scanILN6hipcub18BlockScanAlgorithmE0EEiLj256ELj3ELj100EEvPKT0_PS4_S4_,@function
_Z6kernelI14exclusive_scanILN6hipcub18BlockScanAlgorithmE0EEiLj256ELj3ELj100EEvPKT0_PS4_S4_: ; @_Z6kernelI14exclusive_scanILN6hipcub18BlockScanAlgorithmE0EEiLj256ELj3ELj100EEvPKT0_PS4_S4_
; %bb.0:
	s_load_dword s3, s[0:1], 0x24
	s_load_dwordx4 s[24:27], s[0:1], 0x0
	s_load_dword s28, s[0:1], 0x10
	v_mov_b32_e32 v3, 0
	v_mov_b32_e32 v5, v3
	s_waitcnt lgkmcnt(0)
	s_and_b32 s0, s3, 0xffff
	s_mul_i32 s2, s2, s0
	v_add_u32_e32 v1, s2, v0
	v_lshl_add_u32 v2, v1, 1, v1
	v_lshl_add_u64 v[10:11], v[2:3], 2, s[24:25]
	v_add_u32_e32 v4, 1, v2
	v_add_u32_e32 v6, 2, v2
	v_mov_b32_e32 v7, v3
	v_lshl_add_u64 v[14:15], v[4:5], 2, s[24:25]
	v_lshl_add_u64 v[16:17], v[6:7], 2, s[24:25]
	global_load_dword v1, v[10:11], off
	global_load_dword v8, v[14:15], off
	;; [unrolled: 1-line block ×3, first 2 shown]
	v_mbcnt_lo_u32_b32 v9, -1, 0
	v_mbcnt_hi_u32_b32 v11, -1, v9
	v_and_b32_e32 v9, 15, v11
	v_cmp_eq_u32_e32 vcc, 0, v9
	v_cmp_lt_u32_e64 s[0:1], 1, v9
	v_cmp_lt_u32_e64 s[2:3], 3, v9
	;; [unrolled: 1-line block ×3, first 2 shown]
	v_and_b32_e32 v9, 16, v11
	v_cmp_eq_u32_e64 s[6:7], 0, v9
	v_or_b32_e32 v9, 63, v0
	v_cmp_eq_u32_e64 s[10:11], v9, v0
	v_add_u32_e32 v9, -1, v11
	v_and_b32_e32 v10, 64, v11
	v_cmp_lt_i32_e64 s[16:17], v9, v10
	v_lshrrev_b32_e32 v10, 4, v0
	v_cmp_lt_u32_e64 s[8:9], 31, v11
	v_cndmask_b32_e64 v9, v9, v11, s[16:17]
	v_cmp_eq_u32_e64 s[16:17], 0, v11
	v_and_b32_e32 v10, 12, v10
	v_and_b32_e32 v11, 3, v11
	v_cmp_gt_u32_e64 s[12:13], 4, v0
	v_cmp_lt_u32_e64 s[14:15], 63, v0
	v_lshlrev_b32_e32 v9, 2, v9
	v_cmp_eq_u32_e64 s[18:19], 0, v0
	v_lshlrev_b32_e32 v0, 2, v0
	v_cmp_eq_u32_e64 s[20:21], 0, v11
	v_cmp_lt_u32_e64 s[22:23], 1, v11
	v_add_u32_e32 v11, -4, v10
	s_movk_i32 s29, 0x64
	v_mov_b32_e32 v12, s28
.LBB187_1:                              ; =>This Inner Loop Header: Depth=1
	s_waitcnt vmcnt(0)
	v_add3_u32 v13, v8, v1, v13
	s_nop 1
	v_mov_b32_dpp v14, v13 row_shr:1 row_mask:0xf bank_mask:0xf
	v_cndmask_b32_e64 v14, v14, 0, vcc
	v_add_u32_e32 v13, v13, v14
	s_nop 1
	v_mov_b32_dpp v14, v13 row_shr:2 row_mask:0xf bank_mask:0xf
	v_cndmask_b32_e64 v14, 0, v14, s[0:1]
	v_add_u32_e32 v13, v13, v14
	s_nop 1
	v_mov_b32_dpp v14, v13 row_shr:4 row_mask:0xf bank_mask:0xf
	v_cndmask_b32_e64 v14, 0, v14, s[2:3]
	v_add_u32_e32 v13, v13, v14
	s_nop 1
	v_mov_b32_dpp v14, v13 row_shr:8 row_mask:0xf bank_mask:0xf
	v_cndmask_b32_e64 v14, 0, v14, s[4:5]
	v_add_u32_e32 v13, v13, v14
	s_nop 1
	v_mov_b32_dpp v14, v13 row_bcast:15 row_mask:0xf bank_mask:0xf
	v_cndmask_b32_e64 v14, v14, 0, s[6:7]
	v_add_u32_e32 v13, v13, v14
	s_nop 1
	v_mov_b32_dpp v14, v13 row_bcast:31 row_mask:0xf bank_mask:0xf
	v_cndmask_b32_e64 v14, 0, v14, s[8:9]
	v_add_u32_e32 v13, v13, v14
	s_and_saveexec_b64 s[24:25], s[10:11]
	s_cbranch_execz .LBB187_3
; %bb.2:                                ;   in Loop: Header=BB187_1 Depth=1
	ds_write_b32 v10, v13
.LBB187_3:                              ;   in Loop: Header=BB187_1 Depth=1
	s_or_b64 exec, exec, s[24:25]
	s_waitcnt lgkmcnt(0)
	s_barrier
	s_and_saveexec_b64 s[24:25], s[12:13]
	s_cbranch_execz .LBB187_5
; %bb.4:                                ;   in Loop: Header=BB187_1 Depth=1
	ds_read_b32 v14, v0
	s_waitcnt lgkmcnt(0)
	s_nop 0
	v_mov_b32_dpp v15, v14 row_shr:1 row_mask:0xf bank_mask:0xf
	v_cndmask_b32_e64 v15, v15, 0, s[20:21]
	v_add_u32_e32 v14, v15, v14
	s_nop 1
	v_mov_b32_dpp v15, v14 row_shr:2 row_mask:0xf bank_mask:0xf
	v_cndmask_b32_e64 v15, 0, v15, s[22:23]
	v_add_u32_e32 v14, v14, v15
	ds_write_b32 v0, v14
.LBB187_5:                              ;   in Loop: Header=BB187_1 Depth=1
	s_or_b64 exec, exec, s[24:25]
	v_mov_b32_e32 v14, s28
	s_waitcnt lgkmcnt(0)
	s_barrier
	s_and_saveexec_b64 s[24:25], s[14:15]
	s_cbranch_execz .LBB187_7
; %bb.6:                                ;   in Loop: Header=BB187_1 Depth=1
	ds_read_b32 v14, v11
	s_waitcnt lgkmcnt(0)
	v_add_u32_e32 v14, s28, v14
.LBB187_7:                              ;   in Loop: Header=BB187_1 Depth=1
	s_or_b64 exec, exec, s[24:25]
	v_add_u32_e32 v13, v14, v13
	ds_bpermute_b32 v13, v9, v13
	s_add_i32 s29, s29, -1
	s_cmp_lg_u32 s29, 0
	s_waitcnt lgkmcnt(0)
	v_cndmask_b32_e64 v13, v13, v14, s[16:17]
	v_cndmask_b32_e64 v15, v13, v12, s[18:19]
	v_add_u32_e32 v14, v15, v1
	v_add_u32_e32 v13, v14, v8
	s_cbranch_scc0 .LBB187_9
; %bb.8:                                ;   in Loop: Header=BB187_1 Depth=1
	v_mov_b32_e32 v1, v15
	v_mov_b32_e32 v8, v14
	s_branch .LBB187_1
.LBB187_9:
	v_lshl_add_u64 v[0:1], v[2:3], 2, s[26:27]
	global_store_dword v[0:1], v15, off
	v_lshl_add_u64 v[0:1], v[4:5], 2, s[26:27]
	global_store_dword v[0:1], v14, off
	;; [unrolled: 2-line block ×3, first 2 shown]
	s_endpgm
	.section	.rodata,"a",@progbits
	.p2align	6, 0x0
	.amdhsa_kernel _Z6kernelI14exclusive_scanILN6hipcub18BlockScanAlgorithmE0EEiLj256ELj3ELj100EEvPKT0_PS4_S4_
		.amdhsa_group_segment_fixed_size 16
		.amdhsa_private_segment_fixed_size 0
		.amdhsa_kernarg_size 280
		.amdhsa_user_sgpr_count 2
		.amdhsa_user_sgpr_dispatch_ptr 0
		.amdhsa_user_sgpr_queue_ptr 0
		.amdhsa_user_sgpr_kernarg_segment_ptr 1
		.amdhsa_user_sgpr_dispatch_id 0
		.amdhsa_user_sgpr_kernarg_preload_length 0
		.amdhsa_user_sgpr_kernarg_preload_offset 0
		.amdhsa_user_sgpr_private_segment_size 0
		.amdhsa_uses_dynamic_stack 0
		.amdhsa_enable_private_segment 0
		.amdhsa_system_sgpr_workgroup_id_x 1
		.amdhsa_system_sgpr_workgroup_id_y 0
		.amdhsa_system_sgpr_workgroup_id_z 0
		.amdhsa_system_sgpr_workgroup_info 0
		.amdhsa_system_vgpr_workitem_id 0
		.amdhsa_next_free_vgpr 18
		.amdhsa_next_free_sgpr 30
		.amdhsa_accum_offset 20
		.amdhsa_reserve_vcc 1
		.amdhsa_float_round_mode_32 0
		.amdhsa_float_round_mode_16_64 0
		.amdhsa_float_denorm_mode_32 3
		.amdhsa_float_denorm_mode_16_64 3
		.amdhsa_dx10_clamp 1
		.amdhsa_ieee_mode 1
		.amdhsa_fp16_overflow 0
		.amdhsa_tg_split 0
		.amdhsa_exception_fp_ieee_invalid_op 0
		.amdhsa_exception_fp_denorm_src 0
		.amdhsa_exception_fp_ieee_div_zero 0
		.amdhsa_exception_fp_ieee_overflow 0
		.amdhsa_exception_fp_ieee_underflow 0
		.amdhsa_exception_fp_ieee_inexact 0
		.amdhsa_exception_int_div_zero 0
	.end_amdhsa_kernel
	.section	.text._Z6kernelI14exclusive_scanILN6hipcub18BlockScanAlgorithmE0EEiLj256ELj3ELj100EEvPKT0_PS4_S4_,"axG",@progbits,_Z6kernelI14exclusive_scanILN6hipcub18BlockScanAlgorithmE0EEiLj256ELj3ELj100EEvPKT0_PS4_S4_,comdat
.Lfunc_end187:
	.size	_Z6kernelI14exclusive_scanILN6hipcub18BlockScanAlgorithmE0EEiLj256ELj3ELj100EEvPKT0_PS4_S4_, .Lfunc_end187-_Z6kernelI14exclusive_scanILN6hipcub18BlockScanAlgorithmE0EEiLj256ELj3ELj100EEvPKT0_PS4_S4_
                                        ; -- End function
	.section	.AMDGPU.csdata,"",@progbits
; Kernel info:
; codeLenInByte = 724
; NumSgprs: 36
; NumVgprs: 18
; NumAgprs: 0
; TotalNumVgprs: 18
; ScratchSize: 0
; MemoryBound: 0
; FloatMode: 240
; IeeeMode: 1
; LDSByteSize: 16 bytes/workgroup (compile time only)
; SGPRBlocks: 4
; VGPRBlocks: 2
; NumSGPRsForWavesPerEU: 36
; NumVGPRsForWavesPerEU: 18
; AccumOffset: 20
; Occupancy: 8
; WaveLimiterHint : 0
; COMPUTE_PGM_RSRC2:SCRATCH_EN: 0
; COMPUTE_PGM_RSRC2:USER_SGPR: 2
; COMPUTE_PGM_RSRC2:TRAP_HANDLER: 0
; COMPUTE_PGM_RSRC2:TGID_X_EN: 1
; COMPUTE_PGM_RSRC2:TGID_Y_EN: 0
; COMPUTE_PGM_RSRC2:TGID_Z_EN: 0
; COMPUTE_PGM_RSRC2:TIDIG_COMP_CNT: 0
; COMPUTE_PGM_RSRC3_GFX90A:ACCUM_OFFSET: 4
; COMPUTE_PGM_RSRC3_GFX90A:TG_SPLIT: 0
	.section	.text._Z6kernelI14exclusive_scanILN6hipcub18BlockScanAlgorithmE0EEiLj256ELj4ELj100EEvPKT0_PS4_S4_,"axG",@progbits,_Z6kernelI14exclusive_scanILN6hipcub18BlockScanAlgorithmE0EEiLj256ELj4ELj100EEvPKT0_PS4_S4_,comdat
	.protected	_Z6kernelI14exclusive_scanILN6hipcub18BlockScanAlgorithmE0EEiLj256ELj4ELj100EEvPKT0_PS4_S4_ ; -- Begin function _Z6kernelI14exclusive_scanILN6hipcub18BlockScanAlgorithmE0EEiLj256ELj4ELj100EEvPKT0_PS4_S4_
	.globl	_Z6kernelI14exclusive_scanILN6hipcub18BlockScanAlgorithmE0EEiLj256ELj4ELj100EEvPKT0_PS4_S4_
	.p2align	8
	.type	_Z6kernelI14exclusive_scanILN6hipcub18BlockScanAlgorithmE0EEiLj256ELj4ELj100EEvPKT0_PS4_S4_,@function
_Z6kernelI14exclusive_scanILN6hipcub18BlockScanAlgorithmE0EEiLj256ELj4ELj100EEvPKT0_PS4_S4_: ; @_Z6kernelI14exclusive_scanILN6hipcub18BlockScanAlgorithmE0EEiLj256ELj4ELj100EEvPKT0_PS4_S4_
; %bb.0:
	s_load_dwordx4 s[24:27], s[0:1], 0x0
	s_load_dword s3, s[0:1], 0x24
	s_load_dword s28, s[0:1], 0x10
	v_mov_b32_e32 v11, 0
	v_mbcnt_lo_u32_b32 v1, -1, 0
	s_waitcnt lgkmcnt(0)
	v_mov_b32_e32 v2, s24
	s_and_b32 s0, s3, 0xffff
	s_mul_i32 s2, s2, s0
	v_mov_b32_e32 v3, s25
	v_add_lshl_u32 v10, s2, v0, 2
	v_lshl_add_u64 v[2:3], v[10:11], 2, v[2:3]
	global_load_dwordx4 v[2:5], v[2:3], off
	v_mbcnt_hi_u32_b32 v6, -1, v1
	v_and_b32_e32 v1, 15, v6
	v_cmp_eq_u32_e32 vcc, 0, v1
	v_cmp_lt_u32_e64 s[0:1], 1, v1
	v_cmp_lt_u32_e64 s[2:3], 3, v1
	;; [unrolled: 1-line block ×3, first 2 shown]
	v_and_b32_e32 v1, 16, v6
	v_cmp_eq_u32_e64 s[6:7], 0, v1
	v_or_b32_e32 v1, 63, v0
	v_cmp_eq_u32_e64 s[10:11], v1, v0
	v_add_u32_e32 v1, -1, v6
	v_and_b32_e32 v7, 64, v6
	v_cmp_lt_i32_e64 s[16:17], v1, v7
	v_lshrrev_b32_e32 v7, 4, v0
	v_cmp_lt_u32_e64 s[8:9], 31, v6
	v_cndmask_b32_e64 v1, v1, v6, s[16:17]
	v_cmp_eq_u32_e64 s[16:17], 0, v6
	v_and_b32_e32 v9, 12, v7
	v_and_b32_e32 v6, 3, v6
	v_cmp_gt_u32_e64 s[12:13], 4, v0
	v_cmp_lt_u32_e64 s[14:15], 63, v0
	v_lshlrev_b32_e32 v1, 2, v1
	v_cmp_eq_u32_e64 s[18:19], 0, v0
	v_lshlrev_b32_e32 v0, 2, v0
	v_cmp_eq_u32_e64 s[20:21], 0, v6
	v_cmp_lt_u32_e64 s[22:23], 1, v6
	v_add_u32_e32 v12, -4, v9
	s_movk_i32 s29, 0x64
	v_mov_b32_e32 v13, s28
.LBB188_1:                              ; =>This Inner Loop Header: Depth=1
	s_waitcnt vmcnt(0)
	v_add_u32_e32 v6, v3, v2
	v_add3_u32 v5, v6, v4, v5
	s_nop 1
	v_mov_b32_dpp v6, v5 row_shr:1 row_mask:0xf bank_mask:0xf
	v_cndmask_b32_e64 v6, v6, 0, vcc
	v_add_u32_e32 v5, v5, v6
	s_nop 1
	v_mov_b32_dpp v6, v5 row_shr:2 row_mask:0xf bank_mask:0xf
	v_cndmask_b32_e64 v6, 0, v6, s[0:1]
	v_add_u32_e32 v5, v5, v6
	s_nop 1
	v_mov_b32_dpp v6, v5 row_shr:4 row_mask:0xf bank_mask:0xf
	v_cndmask_b32_e64 v6, 0, v6, s[2:3]
	;; [unrolled: 4-line block ×3, first 2 shown]
	v_add_u32_e32 v5, v5, v6
	s_nop 1
	v_mov_b32_dpp v6, v5 row_bcast:15 row_mask:0xf bank_mask:0xf
	v_cndmask_b32_e64 v6, v6, 0, s[6:7]
	v_add_u32_e32 v5, v5, v6
	s_nop 1
	v_mov_b32_dpp v6, v5 row_bcast:31 row_mask:0xf bank_mask:0xf
	v_cndmask_b32_e64 v6, 0, v6, s[8:9]
	v_add_u32_e32 v5, v5, v6
	s_and_saveexec_b64 s[24:25], s[10:11]
	s_cbranch_execz .LBB188_3
; %bb.2:                                ;   in Loop: Header=BB188_1 Depth=1
	ds_write_b32 v9, v5
.LBB188_3:                              ;   in Loop: Header=BB188_1 Depth=1
	s_or_b64 exec, exec, s[24:25]
	s_waitcnt lgkmcnt(0)
	s_barrier
	s_and_saveexec_b64 s[24:25], s[12:13]
	s_cbranch_execz .LBB188_5
; %bb.4:                                ;   in Loop: Header=BB188_1 Depth=1
	ds_read_b32 v6, v0
	s_waitcnt lgkmcnt(0)
	s_nop 0
	v_mov_b32_dpp v7, v6 row_shr:1 row_mask:0xf bank_mask:0xf
	v_cndmask_b32_e64 v7, v7, 0, s[20:21]
	v_add_u32_e32 v6, v7, v6
	s_nop 1
	v_mov_b32_dpp v7, v6 row_shr:2 row_mask:0xf bank_mask:0xf
	v_cndmask_b32_e64 v7, 0, v7, s[22:23]
	v_add_u32_e32 v6, v6, v7
	ds_write_b32 v0, v6
.LBB188_5:                              ;   in Loop: Header=BB188_1 Depth=1
	s_or_b64 exec, exec, s[24:25]
	v_mov_b32_e32 v6, s28
	s_waitcnt lgkmcnt(0)
	s_barrier
	s_and_saveexec_b64 s[24:25], s[14:15]
	s_cbranch_execz .LBB188_7
; %bb.6:                                ;   in Loop: Header=BB188_1 Depth=1
	ds_read_b32 v6, v12
	s_waitcnt lgkmcnt(0)
	v_add_u32_e32 v6, s28, v6
.LBB188_7:                              ;   in Loop: Header=BB188_1 Depth=1
	s_or_b64 exec, exec, s[24:25]
	v_add_u32_e32 v5, v6, v5
	ds_bpermute_b32 v5, v1, v5
	s_add_i32 s29, s29, -1
	s_cmp_lg_u32 s29, 0
	s_waitcnt lgkmcnt(0)
	v_cndmask_b32_e64 v5, v5, v6, s[16:17]
	v_cndmask_b32_e64 v6, v5, v13, s[18:19]
	v_add_u32_e32 v7, v6, v2
	v_add_u32_e32 v8, v7, v3
	;; [unrolled: 1-line block ×3, first 2 shown]
	s_cbranch_scc0 .LBB188_9
; %bb.8:                                ;   in Loop: Header=BB188_1 Depth=1
	v_mov_b32_e32 v2, v6
	v_mov_b32_e32 v3, v7
	;; [unrolled: 1-line block ×3, first 2 shown]
	s_branch .LBB188_1
.LBB188_9:
	v_mov_b32_e32 v0, s26
	v_mov_b32_e32 v1, s27
	v_lshl_add_u64 v[0:1], v[10:11], 2, v[0:1]
	v_mov_b32_e32 v9, v5
	global_store_dwordx4 v[0:1], v[6:9], off
	s_endpgm
	.section	.rodata,"a",@progbits
	.p2align	6, 0x0
	.amdhsa_kernel _Z6kernelI14exclusive_scanILN6hipcub18BlockScanAlgorithmE0EEiLj256ELj4ELj100EEvPKT0_PS4_S4_
		.amdhsa_group_segment_fixed_size 16
		.amdhsa_private_segment_fixed_size 0
		.amdhsa_kernarg_size 280
		.amdhsa_user_sgpr_count 2
		.amdhsa_user_sgpr_dispatch_ptr 0
		.amdhsa_user_sgpr_queue_ptr 0
		.amdhsa_user_sgpr_kernarg_segment_ptr 1
		.amdhsa_user_sgpr_dispatch_id 0
		.amdhsa_user_sgpr_kernarg_preload_length 0
		.amdhsa_user_sgpr_kernarg_preload_offset 0
		.amdhsa_user_sgpr_private_segment_size 0
		.amdhsa_uses_dynamic_stack 0
		.amdhsa_enable_private_segment 0
		.amdhsa_system_sgpr_workgroup_id_x 1
		.amdhsa_system_sgpr_workgroup_id_y 0
		.amdhsa_system_sgpr_workgroup_id_z 0
		.amdhsa_system_sgpr_workgroup_info 0
		.amdhsa_system_vgpr_workitem_id 0
		.amdhsa_next_free_vgpr 14
		.amdhsa_next_free_sgpr 30
		.amdhsa_accum_offset 16
		.amdhsa_reserve_vcc 1
		.amdhsa_float_round_mode_32 0
		.amdhsa_float_round_mode_16_64 0
		.amdhsa_float_denorm_mode_32 3
		.amdhsa_float_denorm_mode_16_64 3
		.amdhsa_dx10_clamp 1
		.amdhsa_ieee_mode 1
		.amdhsa_fp16_overflow 0
		.amdhsa_tg_split 0
		.amdhsa_exception_fp_ieee_invalid_op 0
		.amdhsa_exception_fp_denorm_src 0
		.amdhsa_exception_fp_ieee_div_zero 0
		.amdhsa_exception_fp_ieee_overflow 0
		.amdhsa_exception_fp_ieee_underflow 0
		.amdhsa_exception_fp_ieee_inexact 0
		.amdhsa_exception_int_div_zero 0
	.end_amdhsa_kernel
	.section	.text._Z6kernelI14exclusive_scanILN6hipcub18BlockScanAlgorithmE0EEiLj256ELj4ELj100EEvPKT0_PS4_S4_,"axG",@progbits,_Z6kernelI14exclusive_scanILN6hipcub18BlockScanAlgorithmE0EEiLj256ELj4ELj100EEvPKT0_PS4_S4_,comdat
.Lfunc_end188:
	.size	_Z6kernelI14exclusive_scanILN6hipcub18BlockScanAlgorithmE0EEiLj256ELj4ELj100EEvPKT0_PS4_S4_, .Lfunc_end188-_Z6kernelI14exclusive_scanILN6hipcub18BlockScanAlgorithmE0EEiLj256ELj4ELj100EEvPKT0_PS4_S4_
                                        ; -- End function
	.section	.AMDGPU.csdata,"",@progbits
; Kernel info:
; codeLenInByte = 672
; NumSgprs: 36
; NumVgprs: 14
; NumAgprs: 0
; TotalNumVgprs: 14
; ScratchSize: 0
; MemoryBound: 0
; FloatMode: 240
; IeeeMode: 1
; LDSByteSize: 16 bytes/workgroup (compile time only)
; SGPRBlocks: 4
; VGPRBlocks: 1
; NumSGPRsForWavesPerEU: 36
; NumVGPRsForWavesPerEU: 14
; AccumOffset: 16
; Occupancy: 8
; WaveLimiterHint : 0
; COMPUTE_PGM_RSRC2:SCRATCH_EN: 0
; COMPUTE_PGM_RSRC2:USER_SGPR: 2
; COMPUTE_PGM_RSRC2:TRAP_HANDLER: 0
; COMPUTE_PGM_RSRC2:TGID_X_EN: 1
; COMPUTE_PGM_RSRC2:TGID_Y_EN: 0
; COMPUTE_PGM_RSRC2:TGID_Z_EN: 0
; COMPUTE_PGM_RSRC2:TIDIG_COMP_CNT: 0
; COMPUTE_PGM_RSRC3_GFX90A:ACCUM_OFFSET: 3
; COMPUTE_PGM_RSRC3_GFX90A:TG_SPLIT: 0
	.section	.text._Z6kernelI14exclusive_scanILN6hipcub18BlockScanAlgorithmE0EEiLj256ELj8ELj100EEvPKT0_PS4_S4_,"axG",@progbits,_Z6kernelI14exclusive_scanILN6hipcub18BlockScanAlgorithmE0EEiLj256ELj8ELj100EEvPKT0_PS4_S4_,comdat
	.protected	_Z6kernelI14exclusive_scanILN6hipcub18BlockScanAlgorithmE0EEiLj256ELj8ELj100EEvPKT0_PS4_S4_ ; -- Begin function _Z6kernelI14exclusive_scanILN6hipcub18BlockScanAlgorithmE0EEiLj256ELj8ELj100EEvPKT0_PS4_S4_
	.globl	_Z6kernelI14exclusive_scanILN6hipcub18BlockScanAlgorithmE0EEiLj256ELj8ELj100EEvPKT0_PS4_S4_
	.p2align	8
	.type	_Z6kernelI14exclusive_scanILN6hipcub18BlockScanAlgorithmE0EEiLj256ELj8ELj100EEvPKT0_PS4_S4_,@function
_Z6kernelI14exclusive_scanILN6hipcub18BlockScanAlgorithmE0EEiLj256ELj8ELj100EEvPKT0_PS4_S4_: ; @_Z6kernelI14exclusive_scanILN6hipcub18BlockScanAlgorithmE0EEiLj256ELj8ELj100EEvPKT0_PS4_S4_
; %bb.0:
	s_load_dwordx4 s[24:27], s[0:1], 0x0
	s_load_dword s3, s[0:1], 0x24
	s_load_dword s28, s[0:1], 0x10
	v_mov_b32_e32 v19, 0
	v_mbcnt_lo_u32_b32 v1, -1, 0
	s_waitcnt lgkmcnt(0)
	v_mov_b32_e32 v2, s24
	s_and_b32 s0, s3, 0xffff
	s_mul_i32 s2, s2, s0
	v_mov_b32_e32 v3, s25
	v_add_lshl_u32 v18, s2, v0, 3
	v_lshl_add_u64 v[10:11], v[18:19], 2, v[2:3]
	global_load_dwordx4 v[6:9], v[10:11], off
	global_load_dwordx4 v[2:5], v[10:11], off offset:16
	v_mbcnt_hi_u32_b32 v10, -1, v1
	v_and_b32_e32 v1, 15, v10
	v_cmp_eq_u32_e32 vcc, 0, v1
	v_cmp_lt_u32_e64 s[0:1], 1, v1
	v_cmp_lt_u32_e64 s[2:3], 3, v1
	;; [unrolled: 1-line block ×3, first 2 shown]
	v_and_b32_e32 v1, 16, v10
	v_cmp_eq_u32_e64 s[6:7], 0, v1
	v_or_b32_e32 v1, 63, v0
	v_cmp_eq_u32_e64 s[10:11], v1, v0
	v_add_u32_e32 v1, -1, v10
	v_and_b32_e32 v11, 64, v10
	v_cmp_lt_i32_e64 s[16:17], v1, v11
	v_lshrrev_b32_e32 v11, 4, v0
	v_cmp_lt_u32_e64 s[8:9], 31, v10
	v_cndmask_b32_e64 v1, v1, v10, s[16:17]
	v_cmp_eq_u32_e64 s[16:17], 0, v10
	v_and_b32_e32 v17, 12, v11
	v_and_b32_e32 v10, 3, v10
	v_cmp_gt_u32_e64 s[12:13], 4, v0
	v_cmp_lt_u32_e64 s[14:15], 63, v0
	v_lshlrev_b32_e32 v1, 2, v1
	v_cmp_eq_u32_e64 s[18:19], 0, v0
	v_lshlrev_b32_e32 v0, 2, v0
	v_cmp_eq_u32_e64 s[20:21], 0, v10
	v_cmp_lt_u32_e64 s[22:23], 1, v10
	v_add_u32_e32 v20, -4, v17
	s_movk_i32 s29, 0x64
	v_mov_b32_e32 v21, s28
.LBB189_1:                              ; =>This Inner Loop Header: Depth=1
	s_waitcnt vmcnt(1)
	v_add_u32_e32 v10, v7, v6
	v_add3_u32 v10, v10, v8, v9
	s_waitcnt vmcnt(0)
	v_add3_u32 v10, v10, v2, v3
	v_add3_u32 v5, v10, v4, v5
	s_nop 1
	v_mov_b32_dpp v10, v5 row_shr:1 row_mask:0xf bank_mask:0xf
	v_cndmask_b32_e64 v10, v10, 0, vcc
	v_add_u32_e32 v5, v5, v10
	s_nop 1
	v_mov_b32_dpp v10, v5 row_shr:2 row_mask:0xf bank_mask:0xf
	v_cndmask_b32_e64 v10, 0, v10, s[0:1]
	v_add_u32_e32 v5, v5, v10
	s_nop 1
	v_mov_b32_dpp v10, v5 row_shr:4 row_mask:0xf bank_mask:0xf
	v_cndmask_b32_e64 v10, 0, v10, s[2:3]
	;; [unrolled: 4-line block ×3, first 2 shown]
	v_add_u32_e32 v5, v5, v10
	s_nop 1
	v_mov_b32_dpp v10, v5 row_bcast:15 row_mask:0xf bank_mask:0xf
	v_cndmask_b32_e64 v10, v10, 0, s[6:7]
	v_add_u32_e32 v5, v5, v10
	s_nop 1
	v_mov_b32_dpp v10, v5 row_bcast:31 row_mask:0xf bank_mask:0xf
	v_cndmask_b32_e64 v10, 0, v10, s[8:9]
	v_add_u32_e32 v5, v5, v10
	s_and_saveexec_b64 s[24:25], s[10:11]
	s_cbranch_execz .LBB189_3
; %bb.2:                                ;   in Loop: Header=BB189_1 Depth=1
	ds_write_b32 v17, v5
.LBB189_3:                              ;   in Loop: Header=BB189_1 Depth=1
	s_or_b64 exec, exec, s[24:25]
	s_waitcnt lgkmcnt(0)
	s_barrier
	s_and_saveexec_b64 s[24:25], s[12:13]
	s_cbranch_execz .LBB189_5
; %bb.4:                                ;   in Loop: Header=BB189_1 Depth=1
	ds_read_b32 v10, v0
	s_waitcnt lgkmcnt(0)
	s_nop 0
	v_mov_b32_dpp v11, v10 row_shr:1 row_mask:0xf bank_mask:0xf
	v_cndmask_b32_e64 v11, v11, 0, s[20:21]
	v_add_u32_e32 v10, v11, v10
	s_nop 1
	v_mov_b32_dpp v11, v10 row_shr:2 row_mask:0xf bank_mask:0xf
	v_cndmask_b32_e64 v11, 0, v11, s[22:23]
	v_add_u32_e32 v10, v10, v11
	ds_write_b32 v0, v10
.LBB189_5:                              ;   in Loop: Header=BB189_1 Depth=1
	s_or_b64 exec, exec, s[24:25]
	v_mov_b32_e32 v10, s28
	s_waitcnt lgkmcnt(0)
	s_barrier
	s_and_saveexec_b64 s[24:25], s[14:15]
	s_cbranch_execz .LBB189_7
; %bb.6:                                ;   in Loop: Header=BB189_1 Depth=1
	ds_read_b32 v10, v20
	s_waitcnt lgkmcnt(0)
	v_add_u32_e32 v10, s28, v10
.LBB189_7:                              ;   in Loop: Header=BB189_1 Depth=1
	s_or_b64 exec, exec, s[24:25]
	v_add_u32_e32 v5, v10, v5
	ds_bpermute_b32 v5, v1, v5
	s_add_i32 s29, s29, -1
	s_cmp_lg_u32 s29, 0
	s_waitcnt lgkmcnt(0)
	v_cndmask_b32_e64 v5, v5, v10, s[16:17]
	v_cndmask_b32_e64 v14, v5, v21, s[18:19]
	v_add_u32_e32 v15, v14, v6
	v_add_u32_e32 v16, v15, v7
	;; [unrolled: 1-line block ×7, first 2 shown]
	s_cbranch_scc0 .LBB189_9
; %bb.8:                                ;   in Loop: Header=BB189_1 Depth=1
	v_mov_b32_e32 v6, v14
	v_mov_b32_e32 v7, v15
	;; [unrolled: 1-line block ×7, first 2 shown]
	s_branch .LBB189_1
.LBB189_9:
	v_mov_b32_e32 v0, s26
	v_mov_b32_e32 v1, s27
	v_lshl_add_u64 v[0:1], v[18:19], 2, v[0:1]
	global_store_dwordx3 v[0:1], v[14:16], off
	global_store_dwordx4 v[0:1], v[10:13], off offset:12
	global_store_dword v[0:1], v5, off offset:28
	s_endpgm
	.section	.rodata,"a",@progbits
	.p2align	6, 0x0
	.amdhsa_kernel _Z6kernelI14exclusive_scanILN6hipcub18BlockScanAlgorithmE0EEiLj256ELj8ELj100EEvPKT0_PS4_S4_
		.amdhsa_group_segment_fixed_size 16
		.amdhsa_private_segment_fixed_size 0
		.amdhsa_kernarg_size 280
		.amdhsa_user_sgpr_count 2
		.amdhsa_user_sgpr_dispatch_ptr 0
		.amdhsa_user_sgpr_queue_ptr 0
		.amdhsa_user_sgpr_kernarg_segment_ptr 1
		.amdhsa_user_sgpr_dispatch_id 0
		.amdhsa_user_sgpr_kernarg_preload_length 0
		.amdhsa_user_sgpr_kernarg_preload_offset 0
		.amdhsa_user_sgpr_private_segment_size 0
		.amdhsa_uses_dynamic_stack 0
		.amdhsa_enable_private_segment 0
		.amdhsa_system_sgpr_workgroup_id_x 1
		.amdhsa_system_sgpr_workgroup_id_y 0
		.amdhsa_system_sgpr_workgroup_id_z 0
		.amdhsa_system_sgpr_workgroup_info 0
		.amdhsa_system_vgpr_workitem_id 0
		.amdhsa_next_free_vgpr 22
		.amdhsa_next_free_sgpr 30
		.amdhsa_accum_offset 24
		.amdhsa_reserve_vcc 1
		.amdhsa_float_round_mode_32 0
		.amdhsa_float_round_mode_16_64 0
		.amdhsa_float_denorm_mode_32 3
		.amdhsa_float_denorm_mode_16_64 3
		.amdhsa_dx10_clamp 1
		.amdhsa_ieee_mode 1
		.amdhsa_fp16_overflow 0
		.amdhsa_tg_split 0
		.amdhsa_exception_fp_ieee_invalid_op 0
		.amdhsa_exception_fp_denorm_src 0
		.amdhsa_exception_fp_ieee_div_zero 0
		.amdhsa_exception_fp_ieee_overflow 0
		.amdhsa_exception_fp_ieee_underflow 0
		.amdhsa_exception_fp_ieee_inexact 0
		.amdhsa_exception_int_div_zero 0
	.end_amdhsa_kernel
	.section	.text._Z6kernelI14exclusive_scanILN6hipcub18BlockScanAlgorithmE0EEiLj256ELj8ELj100EEvPKT0_PS4_S4_,"axG",@progbits,_Z6kernelI14exclusive_scanILN6hipcub18BlockScanAlgorithmE0EEiLj256ELj8ELj100EEvPKT0_PS4_S4_,comdat
.Lfunc_end189:
	.size	_Z6kernelI14exclusive_scanILN6hipcub18BlockScanAlgorithmE0EEiLj256ELj8ELj100EEvPKT0_PS4_S4_, .Lfunc_end189-_Z6kernelI14exclusive_scanILN6hipcub18BlockScanAlgorithmE0EEiLj256ELj8ELj100EEvPKT0_PS4_S4_
                                        ; -- End function
	.section	.AMDGPU.csdata,"",@progbits
; Kernel info:
; codeLenInByte = 744
; NumSgprs: 36
; NumVgprs: 22
; NumAgprs: 0
; TotalNumVgprs: 22
; ScratchSize: 0
; MemoryBound: 0
; FloatMode: 240
; IeeeMode: 1
; LDSByteSize: 16 bytes/workgroup (compile time only)
; SGPRBlocks: 4
; VGPRBlocks: 2
; NumSGPRsForWavesPerEU: 36
; NumVGPRsForWavesPerEU: 22
; AccumOffset: 24
; Occupancy: 8
; WaveLimiterHint : 0
; COMPUTE_PGM_RSRC2:SCRATCH_EN: 0
; COMPUTE_PGM_RSRC2:USER_SGPR: 2
; COMPUTE_PGM_RSRC2:TRAP_HANDLER: 0
; COMPUTE_PGM_RSRC2:TGID_X_EN: 1
; COMPUTE_PGM_RSRC2:TGID_Y_EN: 0
; COMPUTE_PGM_RSRC2:TGID_Z_EN: 0
; COMPUTE_PGM_RSRC2:TIDIG_COMP_CNT: 0
; COMPUTE_PGM_RSRC3_GFX90A:ACCUM_OFFSET: 5
; COMPUTE_PGM_RSRC3_GFX90A:TG_SPLIT: 0
	.section	.text._Z6kernelI14exclusive_scanILN6hipcub18BlockScanAlgorithmE0EEiLj256ELj11ELj100EEvPKT0_PS4_S4_,"axG",@progbits,_Z6kernelI14exclusive_scanILN6hipcub18BlockScanAlgorithmE0EEiLj256ELj11ELj100EEvPKT0_PS4_S4_,comdat
	.protected	_Z6kernelI14exclusive_scanILN6hipcub18BlockScanAlgorithmE0EEiLj256ELj11ELj100EEvPKT0_PS4_S4_ ; -- Begin function _Z6kernelI14exclusive_scanILN6hipcub18BlockScanAlgorithmE0EEiLj256ELj11ELj100EEvPKT0_PS4_S4_
	.globl	_Z6kernelI14exclusive_scanILN6hipcub18BlockScanAlgorithmE0EEiLj256ELj11ELj100EEvPKT0_PS4_S4_
	.p2align	8
	.type	_Z6kernelI14exclusive_scanILN6hipcub18BlockScanAlgorithmE0EEiLj256ELj11ELj100EEvPKT0_PS4_S4_,@function
_Z6kernelI14exclusive_scanILN6hipcub18BlockScanAlgorithmE0EEiLj256ELj11ELj100EEvPKT0_PS4_S4_: ; @_Z6kernelI14exclusive_scanILN6hipcub18BlockScanAlgorithmE0EEiLj256ELj11ELj100EEvPKT0_PS4_S4_
; %bb.0:
	s_load_dword s3, s[0:1], 0x24
	s_load_dwordx4 s[24:27], s[0:1], 0x0
	s_load_dword s28, s[0:1], 0x10
	v_mov_b32_e32 v3, 0
	v_mov_b32_e32 v5, v3
	s_waitcnt lgkmcnt(0)
	s_and_b32 s0, s3, 0xffff
	s_mul_i32 s2, s2, s0
	v_add_u32_e32 v1, s2, v0
	v_mul_lo_u32 v2, v1, 11
	v_lshl_add_u64 v[18:19], v[2:3], 2, s[24:25]
	v_add_u32_e32 v4, 1, v2
	v_add_u32_e32 v6, 2, v2
	v_mov_b32_e32 v7, v3
	v_add_u32_e32 v8, 3, v2
	v_mov_b32_e32 v9, v3
	;; [unrolled: 2-line block ×6, first 2 shown]
	v_lshl_add_u64 v[20:21], v[4:5], 2, s[24:25]
	v_lshl_add_u64 v[22:23], v[6:7], 2, s[24:25]
	;; [unrolled: 1-line block ×7, first 2 shown]
	global_load_dword v30, v[18:19], off
	global_load_dword v29, v[20:21], off
	global_load_dword v28, v[22:23], off
	global_load_dword v27, v[32:33], off
	global_load_dword v26, v[34:35], off
	global_load_dword v25, v[36:37], off
	global_load_dword v24, v[38:39], off
	global_load_dword v1, v[40:41], off
	v_add_u32_e32 v18, 8, v2
	v_mov_b32_e32 v19, v3
	v_lshl_add_u64 v[34:35], v[18:19], 2, s[24:25]
	v_add_u32_e32 v20, 9, v2
	v_mov_b32_e32 v21, v3
	v_add_u32_e32 v22, 10, v2
	v_mov_b32_e32 v23, v3
	v_lshl_add_u64 v[38:39], v[20:21], 2, s[24:25]
	v_lshl_add_u64 v[40:41], v[22:23], 2, s[24:25]
	global_load_dword v32, v[34:35], off
	global_load_dword v31, v[38:39], off
	global_load_dword v36, v[40:41], off
	v_mbcnt_lo_u32_b32 v33, -1, 0
	v_mbcnt_hi_u32_b32 v35, -1, v33
	v_and_b32_e32 v33, 15, v35
	v_cmp_eq_u32_e32 vcc, 0, v33
	v_cmp_lt_u32_e64 s[0:1], 1, v33
	v_cmp_lt_u32_e64 s[2:3], 3, v33
	;; [unrolled: 1-line block ×3, first 2 shown]
	v_and_b32_e32 v33, 16, v35
	v_cmp_eq_u32_e64 s[6:7], 0, v33
	v_or_b32_e32 v33, 63, v0
	v_cmp_eq_u32_e64 s[10:11], v33, v0
	v_add_u32_e32 v33, -1, v35
	v_and_b32_e32 v34, 64, v35
	v_cmp_lt_i32_e64 s[16:17], v33, v34
	v_lshrrev_b32_e32 v34, 4, v0
	v_cmp_lt_u32_e64 s[8:9], 31, v35
	v_cndmask_b32_e64 v33, v33, v35, s[16:17]
	v_cmp_eq_u32_e64 s[16:17], 0, v35
	v_and_b32_e32 v34, 12, v34
	v_and_b32_e32 v35, 3, v35
	v_cmp_gt_u32_e64 s[12:13], 4, v0
	v_cmp_lt_u32_e64 s[14:15], 63, v0
	v_lshlrev_b32_e32 v33, 2, v33
	v_cmp_eq_u32_e64 s[18:19], 0, v0
	v_lshlrev_b32_e32 v0, 2, v0
	v_cmp_eq_u32_e64 s[20:21], 0, v35
	v_cmp_lt_u32_e64 s[22:23], 1, v35
	v_add_u32_e32 v35, -4, v34
	s_movk_i32 s29, 0x64
.LBB190_1:                              ; =>This Inner Loop Header: Depth=1
	s_waitcnt vmcnt(0)
	v_add3_u32 v36, v31, v36, v32
	v_add3_u32 v36, v36, v1, v24
	;; [unrolled: 1-line block ×5, first 2 shown]
	s_nop 1
	v_mov_b32_dpp v37, v36 row_shr:1 row_mask:0xf bank_mask:0xf
	v_cndmask_b32_e64 v37, v37, 0, vcc
	v_add_u32_e32 v36, v36, v37
	s_nop 1
	v_mov_b32_dpp v37, v36 row_shr:2 row_mask:0xf bank_mask:0xf
	v_cndmask_b32_e64 v37, 0, v37, s[0:1]
	v_add_u32_e32 v36, v36, v37
	s_nop 1
	v_mov_b32_dpp v37, v36 row_shr:4 row_mask:0xf bank_mask:0xf
	v_cndmask_b32_e64 v37, 0, v37, s[2:3]
	;; [unrolled: 4-line block ×3, first 2 shown]
	v_add_u32_e32 v36, v36, v37
	s_nop 1
	v_mov_b32_dpp v37, v36 row_bcast:15 row_mask:0xf bank_mask:0xf
	v_cndmask_b32_e64 v37, v37, 0, s[6:7]
	v_add_u32_e32 v36, v36, v37
	s_nop 1
	v_mov_b32_dpp v37, v36 row_bcast:31 row_mask:0xf bank_mask:0xf
	v_cndmask_b32_e64 v37, 0, v37, s[8:9]
	v_add_u32_e32 v36, v36, v37
	s_and_saveexec_b64 s[24:25], s[10:11]
	s_cbranch_execz .LBB190_3
; %bb.2:                                ;   in Loop: Header=BB190_1 Depth=1
	ds_write_b32 v34, v36
.LBB190_3:                              ;   in Loop: Header=BB190_1 Depth=1
	s_or_b64 exec, exec, s[24:25]
	s_waitcnt lgkmcnt(0)
	s_barrier
	s_and_saveexec_b64 s[24:25], s[12:13]
	s_cbranch_execz .LBB190_5
; %bb.4:                                ;   in Loop: Header=BB190_1 Depth=1
	ds_read_b32 v37, v0
	s_waitcnt lgkmcnt(0)
	s_nop 0
	v_mov_b32_dpp v38, v37 row_shr:1 row_mask:0xf bank_mask:0xf
	v_cndmask_b32_e64 v38, v38, 0, s[20:21]
	v_add_u32_e32 v37, v38, v37
	s_nop 1
	v_mov_b32_dpp v38, v37 row_shr:2 row_mask:0xf bank_mask:0xf
	v_cndmask_b32_e64 v38, 0, v38, s[22:23]
	v_add_u32_e32 v37, v37, v38
	ds_write_b32 v0, v37
.LBB190_5:                              ;   in Loop: Header=BB190_1 Depth=1
	s_or_b64 exec, exec, s[24:25]
	v_mov_b32_e32 v37, s28
	s_waitcnt lgkmcnt(0)
	s_barrier
	s_and_saveexec_b64 s[24:25], s[14:15]
	s_cbranch_execz .LBB190_7
; %bb.6:                                ;   in Loop: Header=BB190_1 Depth=1
	ds_read_b32 v37, v35
	s_waitcnt lgkmcnt(0)
	v_add_u32_e32 v37, s28, v37
.LBB190_7:                              ;   in Loop: Header=BB190_1 Depth=1
	s_or_b64 exec, exec, s[24:25]
	v_add_u32_e32 v36, v37, v36
	ds_bpermute_b32 v36, v33, v36
	v_mov_b32_e32 v38, s28
	s_add_i32 s29, s29, -1
	s_cmp_lg_u32 s29, 0
	s_waitcnt lgkmcnt(0)
	v_cndmask_b32_e64 v36, v36, v37, s[16:17]
	v_cndmask_b32_e64 v37, v36, v38, s[18:19]
	v_add_u32_e32 v30, v37, v30
	v_add_u32_e32 v29, v30, v29
	;; [unrolled: 1-line block ×10, first 2 shown]
	s_cbranch_scc0 .LBB190_9
; %bb.8:                                ;   in Loop: Header=BB190_1 Depth=1
	v_mov_b32_e32 v31, v32
	v_mov_b32_e32 v32, v1
	;; [unrolled: 1-line block ×10, first 2 shown]
	s_branch .LBB190_1
.LBB190_9:
	v_lshl_add_u64 v[2:3], v[2:3], 2, s[26:27]
	global_store_dword v[2:3], v37, off
	v_lshl_add_u64 v[2:3], v[4:5], 2, s[26:27]
	global_store_dword v[2:3], v30, off
	;; [unrolled: 2-line block ×11, first 2 shown]
	s_endpgm
	.section	.rodata,"a",@progbits
	.p2align	6, 0x0
	.amdhsa_kernel _Z6kernelI14exclusive_scanILN6hipcub18BlockScanAlgorithmE0EEiLj256ELj11ELj100EEvPKT0_PS4_S4_
		.amdhsa_group_segment_fixed_size 16
		.amdhsa_private_segment_fixed_size 0
		.amdhsa_kernarg_size 280
		.amdhsa_user_sgpr_count 2
		.amdhsa_user_sgpr_dispatch_ptr 0
		.amdhsa_user_sgpr_queue_ptr 0
		.amdhsa_user_sgpr_kernarg_segment_ptr 1
		.amdhsa_user_sgpr_dispatch_id 0
		.amdhsa_user_sgpr_kernarg_preload_length 0
		.amdhsa_user_sgpr_kernarg_preload_offset 0
		.amdhsa_user_sgpr_private_segment_size 0
		.amdhsa_uses_dynamic_stack 0
		.amdhsa_enable_private_segment 0
		.amdhsa_system_sgpr_workgroup_id_x 1
		.amdhsa_system_sgpr_workgroup_id_y 0
		.amdhsa_system_sgpr_workgroup_id_z 0
		.amdhsa_system_sgpr_workgroup_info 0
		.amdhsa_system_vgpr_workitem_id 0
		.amdhsa_next_free_vgpr 42
		.amdhsa_next_free_sgpr 30
		.amdhsa_accum_offset 44
		.amdhsa_reserve_vcc 1
		.amdhsa_float_round_mode_32 0
		.amdhsa_float_round_mode_16_64 0
		.amdhsa_float_denorm_mode_32 3
		.amdhsa_float_denorm_mode_16_64 3
		.amdhsa_dx10_clamp 1
		.amdhsa_ieee_mode 1
		.amdhsa_fp16_overflow 0
		.amdhsa_tg_split 0
		.amdhsa_exception_fp_ieee_invalid_op 0
		.amdhsa_exception_fp_denorm_src 0
		.amdhsa_exception_fp_ieee_div_zero 0
		.amdhsa_exception_fp_ieee_overflow 0
		.amdhsa_exception_fp_ieee_underflow 0
		.amdhsa_exception_fp_ieee_inexact 0
		.amdhsa_exception_int_div_zero 0
	.end_amdhsa_kernel
	.section	.text._Z6kernelI14exclusive_scanILN6hipcub18BlockScanAlgorithmE0EEiLj256ELj11ELj100EEvPKT0_PS4_S4_,"axG",@progbits,_Z6kernelI14exclusive_scanILN6hipcub18BlockScanAlgorithmE0EEiLj256ELj11ELj100EEvPKT0_PS4_S4_,comdat
.Lfunc_end190:
	.size	_Z6kernelI14exclusive_scanILN6hipcub18BlockScanAlgorithmE0EEiLj256ELj11ELj100EEvPKT0_PS4_S4_, .Lfunc_end190-_Z6kernelI14exclusive_scanILN6hipcub18BlockScanAlgorithmE0EEiLj256ELj11ELj100EEvPKT0_PS4_S4_
                                        ; -- End function
	.section	.AMDGPU.csdata,"",@progbits
; Kernel info:
; codeLenInByte = 1140
; NumSgprs: 36
; NumVgprs: 42
; NumAgprs: 0
; TotalNumVgprs: 42
; ScratchSize: 0
; MemoryBound: 0
; FloatMode: 240
; IeeeMode: 1
; LDSByteSize: 16 bytes/workgroup (compile time only)
; SGPRBlocks: 4
; VGPRBlocks: 5
; NumSGPRsForWavesPerEU: 36
; NumVGPRsForWavesPerEU: 42
; AccumOffset: 44
; Occupancy: 8
; WaveLimiterHint : 0
; COMPUTE_PGM_RSRC2:SCRATCH_EN: 0
; COMPUTE_PGM_RSRC2:USER_SGPR: 2
; COMPUTE_PGM_RSRC2:TRAP_HANDLER: 0
; COMPUTE_PGM_RSRC2:TGID_X_EN: 1
; COMPUTE_PGM_RSRC2:TGID_Y_EN: 0
; COMPUTE_PGM_RSRC2:TGID_Z_EN: 0
; COMPUTE_PGM_RSRC2:TIDIG_COMP_CNT: 0
; COMPUTE_PGM_RSRC3_GFX90A:ACCUM_OFFSET: 10
; COMPUTE_PGM_RSRC3_GFX90A:TG_SPLIT: 0
	.section	.text._Z6kernelI14exclusive_scanILN6hipcub18BlockScanAlgorithmE0EEiLj256ELj16ELj100EEvPKT0_PS4_S4_,"axG",@progbits,_Z6kernelI14exclusive_scanILN6hipcub18BlockScanAlgorithmE0EEiLj256ELj16ELj100EEvPKT0_PS4_S4_,comdat
	.protected	_Z6kernelI14exclusive_scanILN6hipcub18BlockScanAlgorithmE0EEiLj256ELj16ELj100EEvPKT0_PS4_S4_ ; -- Begin function _Z6kernelI14exclusive_scanILN6hipcub18BlockScanAlgorithmE0EEiLj256ELj16ELj100EEvPKT0_PS4_S4_
	.globl	_Z6kernelI14exclusive_scanILN6hipcub18BlockScanAlgorithmE0EEiLj256ELj16ELj100EEvPKT0_PS4_S4_
	.p2align	8
	.type	_Z6kernelI14exclusive_scanILN6hipcub18BlockScanAlgorithmE0EEiLj256ELj16ELj100EEvPKT0_PS4_S4_,@function
_Z6kernelI14exclusive_scanILN6hipcub18BlockScanAlgorithmE0EEiLj256ELj16ELj100EEvPKT0_PS4_S4_: ; @_Z6kernelI14exclusive_scanILN6hipcub18BlockScanAlgorithmE0EEiLj256ELj16ELj100EEvPKT0_PS4_S4_
; %bb.0:
	s_load_dwordx4 s[24:27], s[0:1], 0x0
	s_load_dword s3, s[0:1], 0x24
	s_load_dword s28, s[0:1], 0x10
	v_mov_b32_e32 v27, 0
	v_mbcnt_lo_u32_b32 v1, -1, 0
	s_waitcnt lgkmcnt(0)
	v_mov_b32_e32 v2, s24
	s_and_b32 s0, s3, 0xffff
	s_mul_i32 s2, s2, s0
	v_mov_b32_e32 v3, s25
	v_add_lshl_u32 v26, s2, v0, 4
	v_lshl_add_u64 v[18:19], v[26:27], 2, v[2:3]
	global_load_dwordx4 v[2:5], v[18:19], off offset:48
	global_load_dwordx4 v[6:9], v[18:19], off offset:32
	global_load_dwordx4 v[10:13], v[18:19], off
	global_load_dwordx4 v[14:17], v[18:19], off offset:16
	v_mbcnt_hi_u32_b32 v1, -1, v1
	v_and_b32_e32 v18, 15, v1
	v_cmp_eq_u32_e32 vcc, 0, v18
	v_cmp_lt_u32_e64 s[0:1], 1, v18
	v_cmp_lt_u32_e64 s[2:3], 3, v18
	;; [unrolled: 1-line block ×3, first 2 shown]
	v_and_b32_e32 v18, 16, v1
	v_cmp_eq_u32_e64 s[6:7], 0, v18
	v_or_b32_e32 v18, 63, v0
	v_cmp_eq_u32_e64 s[10:11], v18, v0
	v_add_u32_e32 v18, -1, v1
	v_and_b32_e32 v19, 64, v1
	v_cmp_lt_i32_e64 s[16:17], v18, v19
	v_cmp_gt_u32_e64 s[12:13], 4, v0
	v_cmp_lt_u32_e64 s[14:15], 63, v0
	v_cndmask_b32_e64 v18, v18, v1, s[16:17]
	v_lshlrev_b32_e32 v28, 2, v18
	v_lshrrev_b32_e32 v18, 4, v0
	v_cmp_eq_u32_e64 s[18:19], 0, v0
	v_and_b32_e32 v29, 12, v18
	v_lshlrev_b32_e32 v30, 2, v0
	v_and_b32_e32 v0, 3, v1
	v_cmp_lt_u32_e64 s[8:9], 31, v1
	v_cmp_eq_u32_e64 s[16:17], 0, v1
	v_cmp_eq_u32_e64 s[20:21], 0, v0
	v_cmp_lt_u32_e64 s[22:23], 1, v0
	v_add_u32_e32 v31, -4, v29
	s_movk_i32 s29, 0x64
.LBB191_1:                              ; =>This Inner Loop Header: Depth=1
	s_waitcnt vmcnt(3)
	v_add_u32_e32 v0, v4, v5
	v_add3_u32 v0, v0, v3, v2
	s_waitcnt vmcnt(2)
	v_add3_u32 v0, v0, v9, v8
	v_add3_u32 v0, v0, v7, v6
	s_waitcnt vmcnt(0)
	v_add3_u32 v0, v0, v17, v16
	v_add3_u32 v0, v0, v15, v14
	;; [unrolled: 1-line block ×4, first 2 shown]
	s_nop 1
	v_mov_b32_dpp v1, v0 row_shr:1 row_mask:0xf bank_mask:0xf
	v_cndmask_b32_e64 v1, v1, 0, vcc
	v_add_u32_e32 v0, v0, v1
	s_nop 1
	v_mov_b32_dpp v1, v0 row_shr:2 row_mask:0xf bank_mask:0xf
	v_cndmask_b32_e64 v1, 0, v1, s[0:1]
	v_add_u32_e32 v0, v0, v1
	s_nop 1
	v_mov_b32_dpp v1, v0 row_shr:4 row_mask:0xf bank_mask:0xf
	v_cndmask_b32_e64 v1, 0, v1, s[2:3]
	;; [unrolled: 4-line block ×3, first 2 shown]
	v_add_u32_e32 v0, v0, v1
	s_nop 1
	v_mov_b32_dpp v1, v0 row_bcast:15 row_mask:0xf bank_mask:0xf
	v_cndmask_b32_e64 v1, v1, 0, s[6:7]
	v_add_u32_e32 v0, v0, v1
	s_nop 1
	v_mov_b32_dpp v1, v0 row_bcast:31 row_mask:0xf bank_mask:0xf
	v_cndmask_b32_e64 v1, 0, v1, s[8:9]
	v_add_u32_e32 v0, v0, v1
	s_and_saveexec_b64 s[24:25], s[10:11]
	s_cbranch_execz .LBB191_3
; %bb.2:                                ;   in Loop: Header=BB191_1 Depth=1
	ds_write_b32 v29, v0
.LBB191_3:                              ;   in Loop: Header=BB191_1 Depth=1
	s_or_b64 exec, exec, s[24:25]
	s_waitcnt lgkmcnt(0)
	s_barrier
	s_and_saveexec_b64 s[24:25], s[12:13]
	s_cbranch_execz .LBB191_5
; %bb.4:                                ;   in Loop: Header=BB191_1 Depth=1
	ds_read_b32 v1, v30
	s_waitcnt lgkmcnt(0)
	s_nop 0
	v_mov_b32_dpp v5, v1 row_shr:1 row_mask:0xf bank_mask:0xf
	v_cndmask_b32_e64 v5, v5, 0, s[20:21]
	v_add_u32_e32 v1, v5, v1
	s_nop 1
	v_mov_b32_dpp v5, v1 row_shr:2 row_mask:0xf bank_mask:0xf
	v_cndmask_b32_e64 v5, 0, v5, s[22:23]
	v_add_u32_e32 v1, v1, v5
	ds_write_b32 v30, v1
.LBB191_5:                              ;   in Loop: Header=BB191_1 Depth=1
	s_or_b64 exec, exec, s[24:25]
	v_mov_b32_e32 v1, s28
	s_waitcnt lgkmcnt(0)
	s_barrier
	s_and_saveexec_b64 s[24:25], s[14:15]
	s_cbranch_execz .LBB191_7
; %bb.6:                                ;   in Loop: Header=BB191_1 Depth=1
	ds_read_b32 v1, v31
	s_waitcnt lgkmcnt(0)
	v_add_u32_e32 v1, s28, v1
.LBB191_7:                              ;   in Loop: Header=BB191_1 Depth=1
	s_or_b64 exec, exec, s[24:25]
	v_add_u32_e32 v0, v1, v0
	ds_bpermute_b32 v0, v28, v0
	v_mov_b32_e32 v5, s28
	s_add_i32 s29, s29, -1
	s_cmp_lg_u32 s29, 0
	s_waitcnt lgkmcnt(0)
	v_cndmask_b32_e64 v0, v0, v1, s[16:17]
	v_cndmask_b32_e64 v18, v0, v5, s[18:19]
	v_add_u32_e32 v19, v18, v10
	v_add_u32_e32 v20, v19, v11
	;; [unrolled: 1-line block ×15, first 2 shown]
	s_cbranch_scc0 .LBB191_9
; %bb.8:                                ;   in Loop: Header=BB191_1 Depth=1
	v_mov_b32_e32 v11, v19
	v_mov_b32_e32 v10, v18
	;; [unrolled: 1-line block ×15, first 2 shown]
	s_branch .LBB191_1
.LBB191_9:
	v_mov_b32_e32 v6, s26
	v_mov_b32_e32 v7, s27
	v_lshl_add_u64 v[6:7], v[26:27], 2, v[6:7]
	v_mov_b32_e32 v3, v5
	global_store_dwordx4 v[6:7], v[18:21], off
	global_store_dwordx4 v[6:7], v[12:15], off offset:16
	global_store_dwordx4 v[6:7], v[22:25], off offset:32
	;; [unrolled: 1-line block ×3, first 2 shown]
	s_endpgm
	.section	.rodata,"a",@progbits
	.p2align	6, 0x0
	.amdhsa_kernel _Z6kernelI14exclusive_scanILN6hipcub18BlockScanAlgorithmE0EEiLj256ELj16ELj100EEvPKT0_PS4_S4_
		.amdhsa_group_segment_fixed_size 16
		.amdhsa_private_segment_fixed_size 0
		.amdhsa_kernarg_size 280
		.amdhsa_user_sgpr_count 2
		.amdhsa_user_sgpr_dispatch_ptr 0
		.amdhsa_user_sgpr_queue_ptr 0
		.amdhsa_user_sgpr_kernarg_segment_ptr 1
		.amdhsa_user_sgpr_dispatch_id 0
		.amdhsa_user_sgpr_kernarg_preload_length 0
		.amdhsa_user_sgpr_kernarg_preload_offset 0
		.amdhsa_user_sgpr_private_segment_size 0
		.amdhsa_uses_dynamic_stack 0
		.amdhsa_enable_private_segment 0
		.amdhsa_system_sgpr_workgroup_id_x 1
		.amdhsa_system_sgpr_workgroup_id_y 0
		.amdhsa_system_sgpr_workgroup_id_z 0
		.amdhsa_system_sgpr_workgroup_info 0
		.amdhsa_system_vgpr_workitem_id 0
		.amdhsa_next_free_vgpr 32
		.amdhsa_next_free_sgpr 30
		.amdhsa_accum_offset 32
		.amdhsa_reserve_vcc 1
		.amdhsa_float_round_mode_32 0
		.amdhsa_float_round_mode_16_64 0
		.amdhsa_float_denorm_mode_32 3
		.amdhsa_float_denorm_mode_16_64 3
		.amdhsa_dx10_clamp 1
		.amdhsa_ieee_mode 1
		.amdhsa_fp16_overflow 0
		.amdhsa_tg_split 0
		.amdhsa_exception_fp_ieee_invalid_op 0
		.amdhsa_exception_fp_denorm_src 0
		.amdhsa_exception_fp_ieee_div_zero 0
		.amdhsa_exception_fp_ieee_overflow 0
		.amdhsa_exception_fp_ieee_underflow 0
		.amdhsa_exception_fp_ieee_inexact 0
		.amdhsa_exception_int_div_zero 0
	.end_amdhsa_kernel
	.section	.text._Z6kernelI14exclusive_scanILN6hipcub18BlockScanAlgorithmE0EEiLj256ELj16ELj100EEvPKT0_PS4_S4_,"axG",@progbits,_Z6kernelI14exclusive_scanILN6hipcub18BlockScanAlgorithmE0EEiLj256ELj16ELj100EEvPKT0_PS4_S4_,comdat
.Lfunc_end191:
	.size	_Z6kernelI14exclusive_scanILN6hipcub18BlockScanAlgorithmE0EEiLj256ELj16ELj100EEvPKT0_PS4_S4_, .Lfunc_end191-_Z6kernelI14exclusive_scanILN6hipcub18BlockScanAlgorithmE0EEiLj256ELj16ELj100EEvPKT0_PS4_S4_
                                        ; -- End function
	.section	.AMDGPU.csdata,"",@progbits
; Kernel info:
; codeLenInByte = 872
; NumSgprs: 36
; NumVgprs: 32
; NumAgprs: 0
; TotalNumVgprs: 32
; ScratchSize: 0
; MemoryBound: 0
; FloatMode: 240
; IeeeMode: 1
; LDSByteSize: 16 bytes/workgroup (compile time only)
; SGPRBlocks: 4
; VGPRBlocks: 3
; NumSGPRsForWavesPerEU: 36
; NumVGPRsForWavesPerEU: 32
; AccumOffset: 32
; Occupancy: 8
; WaveLimiterHint : 0
; COMPUTE_PGM_RSRC2:SCRATCH_EN: 0
; COMPUTE_PGM_RSRC2:USER_SGPR: 2
; COMPUTE_PGM_RSRC2:TRAP_HANDLER: 0
; COMPUTE_PGM_RSRC2:TGID_X_EN: 1
; COMPUTE_PGM_RSRC2:TGID_Y_EN: 0
; COMPUTE_PGM_RSRC2:TGID_Z_EN: 0
; COMPUTE_PGM_RSRC2:TIDIG_COMP_CNT: 0
; COMPUTE_PGM_RSRC3_GFX90A:ACCUM_OFFSET: 7
; COMPUTE_PGM_RSRC3_GFX90A:TG_SPLIT: 0
	.section	.text._Z6kernelI14exclusive_scanILN6hipcub18BlockScanAlgorithmE0EEfLj256ELj1ELj100EEvPKT0_PS4_S4_,"axG",@progbits,_Z6kernelI14exclusive_scanILN6hipcub18BlockScanAlgorithmE0EEfLj256ELj1ELj100EEvPKT0_PS4_S4_,comdat
	.protected	_Z6kernelI14exclusive_scanILN6hipcub18BlockScanAlgorithmE0EEfLj256ELj1ELj100EEvPKT0_PS4_S4_ ; -- Begin function _Z6kernelI14exclusive_scanILN6hipcub18BlockScanAlgorithmE0EEfLj256ELj1ELj100EEvPKT0_PS4_S4_
	.globl	_Z6kernelI14exclusive_scanILN6hipcub18BlockScanAlgorithmE0EEfLj256ELj1ELj100EEvPKT0_PS4_S4_
	.p2align	8
	.type	_Z6kernelI14exclusive_scanILN6hipcub18BlockScanAlgorithmE0EEfLj256ELj1ELj100EEvPKT0_PS4_S4_,@function
_Z6kernelI14exclusive_scanILN6hipcub18BlockScanAlgorithmE0EEfLj256ELj1ELj100EEvPKT0_PS4_S4_: ; @_Z6kernelI14exclusive_scanILN6hipcub18BlockScanAlgorithmE0EEfLj256ELj1ELj100EEvPKT0_PS4_S4_
; %bb.0:
	s_load_dwordx4 s[20:23], s[0:1], 0x0
	s_load_dword s3, s[0:1], 0x24
	s_load_dword s26, s[0:1], 0x10
	v_mov_b32_e32 v3, 0
	v_mbcnt_lo_u32_b32 v1, -1, 0
	s_waitcnt lgkmcnt(0)
	v_mov_b32_e32 v4, s20
	s_and_b32 s0, s3, 0xffff
	s_mul_i32 s2, s2, s0
	v_mov_b32_e32 v5, s21
	v_add_u32_e32 v2, s2, v0
	v_lshl_add_u64 v[4:5], v[2:3], 2, v[4:5]
	global_load_dword v6, v[4:5], off
	v_mbcnt_hi_u32_b32 v5, -1, v1
	v_and_b32_e32 v1, 15, v5
	v_cmp_eq_u32_e32 vcc, 0, v1
	v_cmp_lt_u32_e64 s[0:1], 1, v1
	v_cmp_lt_u32_e64 s[2:3], 3, v1
	;; [unrolled: 1-line block ×3, first 2 shown]
	v_and_b32_e32 v1, 16, v5
	v_cmp_eq_u32_e64 s[6:7], 0, v1
	v_or_b32_e32 v1, 63, v0
	v_cmp_eq_u32_e64 s[10:11], v1, v0
	v_add_u32_e32 v1, -1, v5
	v_and_b32_e32 v4, 64, v5
	v_cmp_lt_i32_e64 s[16:17], v1, v4
	v_lshrrev_b32_e32 v4, 4, v0
	v_cmp_lt_u32_e64 s[8:9], 31, v5
	v_cndmask_b32_e64 v1, v1, v5, s[16:17]
	v_cmp_eq_u32_e64 s[16:17], 0, v5
	v_and_b32_e32 v4, 12, v4
	v_and_b32_e32 v5, 3, v5
	v_cmp_gt_u32_e64 s[12:13], 4, v0
	v_cmp_lt_u32_e64 s[14:15], 63, v0
	v_lshlrev_b32_e32 v1, 2, v1
	v_lshlrev_b32_e32 v0, 2, v0
	v_cmp_eq_u32_e64 s[18:19], 0, v5
	v_cmp_lt_u32_e64 s[20:21], 1, v5
	v_add_u32_e32 v5, -4, v4
	s_movk_i32 s27, 0x64
	s_branch .LBB192_2
.LBB192_1:                              ;   in Loop: Header=BB192_2 Depth=1
	s_or_b64 exec, exec, s[24:25]
	v_add_f32_e32 v6, v6, v7
	ds_bpermute_b32 v6, v1, v6
	s_add_i32 s27, s27, -1
	s_cmp_lg_u32 s27, 0
	s_waitcnt lgkmcnt(0)
	v_cndmask_b32_e64 v6, v6, v7, s[16:17]
	s_cbranch_scc0 .LBB192_8
.LBB192_2:                              ; =>This Inner Loop Header: Depth=1
	s_waitcnt vmcnt(0)
	v_mov_b32_dpp v7, v6 row_shr:1 row_mask:0xf bank_mask:0xf
	v_add_f32_e32 v7, v6, v7
	v_cndmask_b32_e32 v6, v7, v6, vcc
	s_nop 1
	v_mov_b32_dpp v7, v6 row_shr:2 row_mask:0xf bank_mask:0xf
	v_add_f32_e32 v7, v6, v7
	v_cndmask_b32_e64 v6, v6, v7, s[0:1]
	s_nop 1
	v_mov_b32_dpp v7, v6 row_shr:4 row_mask:0xf bank_mask:0xf
	v_add_f32_e32 v7, v6, v7
	v_cndmask_b32_e64 v6, v6, v7, s[2:3]
	;; [unrolled: 4-line block ×3, first 2 shown]
	s_nop 1
	v_mov_b32_dpp v7, v6 row_bcast:15 row_mask:0xf bank_mask:0xf
	v_add_f32_e32 v7, v6, v7
	v_cndmask_b32_e64 v6, v7, v6, s[6:7]
	s_nop 1
	v_mov_b32_dpp v7, v6 row_bcast:31 row_mask:0xf bank_mask:0xf
	v_add_f32_e32 v7, v6, v7
	v_cndmask_b32_e64 v6, v6, v7, s[8:9]
	s_and_saveexec_b64 s[24:25], s[10:11]
	s_cbranch_execz .LBB192_4
; %bb.3:                                ;   in Loop: Header=BB192_2 Depth=1
	ds_write_b32 v4, v6
.LBB192_4:                              ;   in Loop: Header=BB192_2 Depth=1
	s_or_b64 exec, exec, s[24:25]
	s_waitcnt lgkmcnt(0)
	s_barrier
	s_and_saveexec_b64 s[24:25], s[12:13]
	s_cbranch_execz .LBB192_6
; %bb.5:                                ;   in Loop: Header=BB192_2 Depth=1
	ds_read_b32 v7, v0
	s_waitcnt lgkmcnt(0)
	s_nop 0
	v_mov_b32_dpp v8, v7 row_shr:1 row_mask:0xf bank_mask:0xf
	v_add_f32_e32 v8, v7, v8
	v_cndmask_b32_e64 v7, v8, v7, s[18:19]
	s_nop 1
	v_mov_b32_dpp v8, v7 row_shr:2 row_mask:0xf bank_mask:0xf
	v_add_f32_e32 v8, v7, v8
	v_cndmask_b32_e64 v7, v7, v8, s[20:21]
	ds_write_b32 v0, v7
.LBB192_6:                              ;   in Loop: Header=BB192_2 Depth=1
	s_or_b64 exec, exec, s[24:25]
	v_mov_b32_e32 v7, s26
	s_waitcnt lgkmcnt(0)
	s_barrier
	s_and_saveexec_b64 s[24:25], s[14:15]
	s_cbranch_execz .LBB192_1
; %bb.7:                                ;   in Loop: Header=BB192_2 Depth=1
	ds_read_b32 v7, v5
	s_waitcnt lgkmcnt(0)
	v_add_f32_e32 v7, s26, v7
	s_branch .LBB192_1
.LBB192_8:
	v_mov_b32_e32 v0, s22
	v_mov_b32_e32 v1, s23
	v_lshl_add_u64 v[0:1], v[2:3], 2, v[0:1]
	global_store_dword v[0:1], v6, off
	s_endpgm
	.section	.rodata,"a",@progbits
	.p2align	6, 0x0
	.amdhsa_kernel _Z6kernelI14exclusive_scanILN6hipcub18BlockScanAlgorithmE0EEfLj256ELj1ELj100EEvPKT0_PS4_S4_
		.amdhsa_group_segment_fixed_size 16
		.amdhsa_private_segment_fixed_size 0
		.amdhsa_kernarg_size 280
		.amdhsa_user_sgpr_count 2
		.amdhsa_user_sgpr_dispatch_ptr 0
		.amdhsa_user_sgpr_queue_ptr 0
		.amdhsa_user_sgpr_kernarg_segment_ptr 1
		.amdhsa_user_sgpr_dispatch_id 0
		.amdhsa_user_sgpr_kernarg_preload_length 0
		.amdhsa_user_sgpr_kernarg_preload_offset 0
		.amdhsa_user_sgpr_private_segment_size 0
		.amdhsa_uses_dynamic_stack 0
		.amdhsa_enable_private_segment 0
		.amdhsa_system_sgpr_workgroup_id_x 1
		.amdhsa_system_sgpr_workgroup_id_y 0
		.amdhsa_system_sgpr_workgroup_id_z 0
		.amdhsa_system_sgpr_workgroup_info 0
		.amdhsa_system_vgpr_workitem_id 0
		.amdhsa_next_free_vgpr 9
		.amdhsa_next_free_sgpr 28
		.amdhsa_accum_offset 12
		.amdhsa_reserve_vcc 1
		.amdhsa_float_round_mode_32 0
		.amdhsa_float_round_mode_16_64 0
		.amdhsa_float_denorm_mode_32 3
		.amdhsa_float_denorm_mode_16_64 3
		.amdhsa_dx10_clamp 1
		.amdhsa_ieee_mode 1
		.amdhsa_fp16_overflow 0
		.amdhsa_tg_split 0
		.amdhsa_exception_fp_ieee_invalid_op 0
		.amdhsa_exception_fp_denorm_src 0
		.amdhsa_exception_fp_ieee_div_zero 0
		.amdhsa_exception_fp_ieee_overflow 0
		.amdhsa_exception_fp_ieee_underflow 0
		.amdhsa_exception_fp_ieee_inexact 0
		.amdhsa_exception_int_div_zero 0
	.end_amdhsa_kernel
	.section	.text._Z6kernelI14exclusive_scanILN6hipcub18BlockScanAlgorithmE0EEfLj256ELj1ELj100EEvPKT0_PS4_S4_,"axG",@progbits,_Z6kernelI14exclusive_scanILN6hipcub18BlockScanAlgorithmE0EEfLj256ELj1ELj100EEvPKT0_PS4_S4_,comdat
.Lfunc_end192:
	.size	_Z6kernelI14exclusive_scanILN6hipcub18BlockScanAlgorithmE0EEfLj256ELj1ELj100EEvPKT0_PS4_S4_, .Lfunc_end192-_Z6kernelI14exclusive_scanILN6hipcub18BlockScanAlgorithmE0EEfLj256ELj1ELj100EEvPKT0_PS4_S4_
                                        ; -- End function
	.section	.AMDGPU.csdata,"",@progbits
; Kernel info:
; codeLenInByte = 604
; NumSgprs: 34
; NumVgprs: 9
; NumAgprs: 0
; TotalNumVgprs: 9
; ScratchSize: 0
; MemoryBound: 0
; FloatMode: 240
; IeeeMode: 1
; LDSByteSize: 16 bytes/workgroup (compile time only)
; SGPRBlocks: 4
; VGPRBlocks: 1
; NumSGPRsForWavesPerEU: 34
; NumVGPRsForWavesPerEU: 9
; AccumOffset: 12
; Occupancy: 8
; WaveLimiterHint : 0
; COMPUTE_PGM_RSRC2:SCRATCH_EN: 0
; COMPUTE_PGM_RSRC2:USER_SGPR: 2
; COMPUTE_PGM_RSRC2:TRAP_HANDLER: 0
; COMPUTE_PGM_RSRC2:TGID_X_EN: 1
; COMPUTE_PGM_RSRC2:TGID_Y_EN: 0
; COMPUTE_PGM_RSRC2:TGID_Z_EN: 0
; COMPUTE_PGM_RSRC2:TIDIG_COMP_CNT: 0
; COMPUTE_PGM_RSRC3_GFX90A:ACCUM_OFFSET: 2
; COMPUTE_PGM_RSRC3_GFX90A:TG_SPLIT: 0
	.section	.text._Z6kernelI14exclusive_scanILN6hipcub18BlockScanAlgorithmE0EEfLj256ELj3ELj100EEvPKT0_PS4_S4_,"axG",@progbits,_Z6kernelI14exclusive_scanILN6hipcub18BlockScanAlgorithmE0EEfLj256ELj3ELj100EEvPKT0_PS4_S4_,comdat
	.protected	_Z6kernelI14exclusive_scanILN6hipcub18BlockScanAlgorithmE0EEfLj256ELj3ELj100EEvPKT0_PS4_S4_ ; -- Begin function _Z6kernelI14exclusive_scanILN6hipcub18BlockScanAlgorithmE0EEfLj256ELj3ELj100EEvPKT0_PS4_S4_
	.globl	_Z6kernelI14exclusive_scanILN6hipcub18BlockScanAlgorithmE0EEfLj256ELj3ELj100EEvPKT0_PS4_S4_
	.p2align	8
	.type	_Z6kernelI14exclusive_scanILN6hipcub18BlockScanAlgorithmE0EEfLj256ELj3ELj100EEvPKT0_PS4_S4_,@function
_Z6kernelI14exclusive_scanILN6hipcub18BlockScanAlgorithmE0EEfLj256ELj3ELj100EEvPKT0_PS4_S4_: ; @_Z6kernelI14exclusive_scanILN6hipcub18BlockScanAlgorithmE0EEfLj256ELj3ELj100EEvPKT0_PS4_S4_
; %bb.0:
	s_load_dword s3, s[0:1], 0x24
	s_load_dwordx4 s[24:27], s[0:1], 0x0
	s_load_dword s28, s[0:1], 0x10
	v_mov_b32_e32 v3, 0
	v_mov_b32_e32 v5, v3
	s_waitcnt lgkmcnt(0)
	s_and_b32 s0, s3, 0xffff
	s_mul_i32 s2, s2, s0
	v_add_u32_e32 v1, s2, v0
	v_lshl_add_u32 v2, v1, 1, v1
	v_lshl_add_u64 v[10:11], v[2:3], 2, s[24:25]
	v_add_u32_e32 v4, 1, v2
	v_add_u32_e32 v6, 2, v2
	v_mov_b32_e32 v7, v3
	v_lshl_add_u64 v[14:15], v[4:5], 2, s[24:25]
	v_lshl_add_u64 v[16:17], v[6:7], 2, s[24:25]
	global_load_dword v1, v[10:11], off
	global_load_dword v8, v[14:15], off
	;; [unrolled: 1-line block ×3, first 2 shown]
	v_mbcnt_lo_u32_b32 v9, -1, 0
	v_mbcnt_hi_u32_b32 v11, -1, v9
	v_and_b32_e32 v9, 15, v11
	v_cmp_eq_u32_e32 vcc, 0, v9
	v_cmp_lt_u32_e64 s[0:1], 1, v9
	v_cmp_lt_u32_e64 s[2:3], 3, v9
	;; [unrolled: 1-line block ×3, first 2 shown]
	v_and_b32_e32 v9, 16, v11
	v_cmp_eq_u32_e64 s[6:7], 0, v9
	v_or_b32_e32 v9, 63, v0
	v_cmp_eq_u32_e64 s[10:11], v9, v0
	v_add_u32_e32 v9, -1, v11
	v_and_b32_e32 v10, 64, v11
	v_cmp_lt_i32_e64 s[16:17], v9, v10
	v_lshrrev_b32_e32 v10, 4, v0
	v_cmp_lt_u32_e64 s[8:9], 31, v11
	v_cndmask_b32_e64 v9, v9, v11, s[16:17]
	v_cmp_eq_u32_e64 s[16:17], 0, v11
	v_and_b32_e32 v10, 12, v10
	v_and_b32_e32 v11, 3, v11
	v_cmp_gt_u32_e64 s[12:13], 4, v0
	v_cmp_lt_u32_e64 s[14:15], 63, v0
	v_lshlrev_b32_e32 v9, 2, v9
	v_cmp_eq_u32_e64 s[18:19], 0, v0
	v_lshlrev_b32_e32 v0, 2, v0
	v_cmp_eq_u32_e64 s[20:21], 0, v11
	v_cmp_lt_u32_e64 s[22:23], 1, v11
	v_add_u32_e32 v11, -4, v10
	s_movk_i32 s29, 0x64
	v_mov_b32_e32 v12, s28
.LBB193_1:                              ; =>This Inner Loop Header: Depth=1
	s_waitcnt vmcnt(1)
	v_add_f32_e32 v14, v1, v8
	s_waitcnt vmcnt(0)
	v_add_f32_e32 v13, v13, v14
	s_nop 1
	v_mov_b32_dpp v14, v13 row_shr:1 row_mask:0xf bank_mask:0xf
	v_add_f32_e32 v14, v13, v14
	v_cndmask_b32_e32 v13, v14, v13, vcc
	s_nop 1
	v_mov_b32_dpp v14, v13 row_shr:2 row_mask:0xf bank_mask:0xf
	v_add_f32_e32 v14, v13, v14
	v_cndmask_b32_e64 v13, v13, v14, s[0:1]
	s_nop 1
	v_mov_b32_dpp v14, v13 row_shr:4 row_mask:0xf bank_mask:0xf
	v_add_f32_e32 v14, v13, v14
	v_cndmask_b32_e64 v13, v13, v14, s[2:3]
	s_nop 1
	v_mov_b32_dpp v14, v13 row_shr:8 row_mask:0xf bank_mask:0xf
	v_add_f32_e32 v14, v13, v14
	v_cndmask_b32_e64 v13, v13, v14, s[4:5]
	s_nop 1
	v_mov_b32_dpp v14, v13 row_bcast:15 row_mask:0xf bank_mask:0xf
	v_add_f32_e32 v14, v13, v14
	v_cndmask_b32_e64 v13, v14, v13, s[6:7]
	s_nop 1
	v_mov_b32_dpp v14, v13 row_bcast:31 row_mask:0xf bank_mask:0xf
	v_add_f32_e32 v14, v13, v14
	v_cndmask_b32_e64 v13, v13, v14, s[8:9]
	s_and_saveexec_b64 s[24:25], s[10:11]
	s_cbranch_execz .LBB193_3
; %bb.2:                                ;   in Loop: Header=BB193_1 Depth=1
	ds_write_b32 v10, v13
.LBB193_3:                              ;   in Loop: Header=BB193_1 Depth=1
	s_or_b64 exec, exec, s[24:25]
	s_waitcnt lgkmcnt(0)
	s_barrier
	s_and_saveexec_b64 s[24:25], s[12:13]
	s_cbranch_execz .LBB193_5
; %bb.4:                                ;   in Loop: Header=BB193_1 Depth=1
	ds_read_b32 v14, v0
	s_waitcnt lgkmcnt(0)
	s_nop 0
	v_mov_b32_dpp v15, v14 row_shr:1 row_mask:0xf bank_mask:0xf
	v_add_f32_e32 v15, v14, v15
	v_cndmask_b32_e64 v14, v15, v14, s[20:21]
	s_nop 1
	v_mov_b32_dpp v15, v14 row_shr:2 row_mask:0xf bank_mask:0xf
	v_add_f32_e32 v15, v14, v15
	v_cndmask_b32_e64 v14, v14, v15, s[22:23]
	ds_write_b32 v0, v14
.LBB193_5:                              ;   in Loop: Header=BB193_1 Depth=1
	s_or_b64 exec, exec, s[24:25]
	v_mov_b32_e32 v14, s28
	s_waitcnt lgkmcnt(0)
	s_barrier
	s_and_saveexec_b64 s[24:25], s[14:15]
	s_cbranch_execz .LBB193_7
; %bb.6:                                ;   in Loop: Header=BB193_1 Depth=1
	ds_read_b32 v14, v11
	s_waitcnt lgkmcnt(0)
	v_add_f32_e32 v14, s28, v14
.LBB193_7:                              ;   in Loop: Header=BB193_1 Depth=1
	s_or_b64 exec, exec, s[24:25]
	v_add_f32_e32 v13, v13, v14
	ds_bpermute_b32 v13, v9, v13
	s_add_i32 s29, s29, -1
	s_cmp_lg_u32 s29, 0
	s_waitcnt lgkmcnt(0)
	v_cndmask_b32_e64 v13, v13, v14, s[16:17]
	v_cndmask_b32_e64 v15, v13, v12, s[18:19]
	v_add_f32_e32 v14, v1, v15
	v_add_f32_e32 v13, v8, v14
	s_cbranch_scc0 .LBB193_9
; %bb.8:                                ;   in Loop: Header=BB193_1 Depth=1
	v_mov_b32_e32 v1, v15
	v_mov_b32_e32 v8, v14
	s_branch .LBB193_1
.LBB193_9:
	v_lshl_add_u64 v[0:1], v[2:3], 2, s[26:27]
	global_store_dword v[0:1], v15, off
	v_lshl_add_u64 v[0:1], v[4:5], 2, s[26:27]
	global_store_dword v[0:1], v14, off
	;; [unrolled: 2-line block ×3, first 2 shown]
	s_endpgm
	.section	.rodata,"a",@progbits
	.p2align	6, 0x0
	.amdhsa_kernel _Z6kernelI14exclusive_scanILN6hipcub18BlockScanAlgorithmE0EEfLj256ELj3ELj100EEvPKT0_PS4_S4_
		.amdhsa_group_segment_fixed_size 16
		.amdhsa_private_segment_fixed_size 0
		.amdhsa_kernarg_size 280
		.amdhsa_user_sgpr_count 2
		.amdhsa_user_sgpr_dispatch_ptr 0
		.amdhsa_user_sgpr_queue_ptr 0
		.amdhsa_user_sgpr_kernarg_segment_ptr 1
		.amdhsa_user_sgpr_dispatch_id 0
		.amdhsa_user_sgpr_kernarg_preload_length 0
		.amdhsa_user_sgpr_kernarg_preload_offset 0
		.amdhsa_user_sgpr_private_segment_size 0
		.amdhsa_uses_dynamic_stack 0
		.amdhsa_enable_private_segment 0
		.amdhsa_system_sgpr_workgroup_id_x 1
		.amdhsa_system_sgpr_workgroup_id_y 0
		.amdhsa_system_sgpr_workgroup_id_z 0
		.amdhsa_system_sgpr_workgroup_info 0
		.amdhsa_system_vgpr_workitem_id 0
		.amdhsa_next_free_vgpr 18
		.amdhsa_next_free_sgpr 30
		.amdhsa_accum_offset 20
		.amdhsa_reserve_vcc 1
		.amdhsa_float_round_mode_32 0
		.amdhsa_float_round_mode_16_64 0
		.amdhsa_float_denorm_mode_32 3
		.amdhsa_float_denorm_mode_16_64 3
		.amdhsa_dx10_clamp 1
		.amdhsa_ieee_mode 1
		.amdhsa_fp16_overflow 0
		.amdhsa_tg_split 0
		.amdhsa_exception_fp_ieee_invalid_op 0
		.amdhsa_exception_fp_denorm_src 0
		.amdhsa_exception_fp_ieee_div_zero 0
		.amdhsa_exception_fp_ieee_overflow 0
		.amdhsa_exception_fp_ieee_underflow 0
		.amdhsa_exception_fp_ieee_inexact 0
		.amdhsa_exception_int_div_zero 0
	.end_amdhsa_kernel
	.section	.text._Z6kernelI14exclusive_scanILN6hipcub18BlockScanAlgorithmE0EEfLj256ELj3ELj100EEvPKT0_PS4_S4_,"axG",@progbits,_Z6kernelI14exclusive_scanILN6hipcub18BlockScanAlgorithmE0EEfLj256ELj3ELj100EEvPKT0_PS4_S4_,comdat
.Lfunc_end193:
	.size	_Z6kernelI14exclusive_scanILN6hipcub18BlockScanAlgorithmE0EEfLj256ELj3ELj100EEvPKT0_PS4_S4_, .Lfunc_end193-_Z6kernelI14exclusive_scanILN6hipcub18BlockScanAlgorithmE0EEfLj256ELj3ELj100EEvPKT0_PS4_S4_
                                        ; -- End function
	.section	.AMDGPU.csdata,"",@progbits
; Kernel info:
; codeLenInByte = 724
; NumSgprs: 36
; NumVgprs: 18
; NumAgprs: 0
; TotalNumVgprs: 18
; ScratchSize: 0
; MemoryBound: 0
; FloatMode: 240
; IeeeMode: 1
; LDSByteSize: 16 bytes/workgroup (compile time only)
; SGPRBlocks: 4
; VGPRBlocks: 2
; NumSGPRsForWavesPerEU: 36
; NumVGPRsForWavesPerEU: 18
; AccumOffset: 20
; Occupancy: 8
; WaveLimiterHint : 0
; COMPUTE_PGM_RSRC2:SCRATCH_EN: 0
; COMPUTE_PGM_RSRC2:USER_SGPR: 2
; COMPUTE_PGM_RSRC2:TRAP_HANDLER: 0
; COMPUTE_PGM_RSRC2:TGID_X_EN: 1
; COMPUTE_PGM_RSRC2:TGID_Y_EN: 0
; COMPUTE_PGM_RSRC2:TGID_Z_EN: 0
; COMPUTE_PGM_RSRC2:TIDIG_COMP_CNT: 0
; COMPUTE_PGM_RSRC3_GFX90A:ACCUM_OFFSET: 4
; COMPUTE_PGM_RSRC3_GFX90A:TG_SPLIT: 0
	.section	.text._Z6kernelI14exclusive_scanILN6hipcub18BlockScanAlgorithmE0EEfLj256ELj4ELj100EEvPKT0_PS4_S4_,"axG",@progbits,_Z6kernelI14exclusive_scanILN6hipcub18BlockScanAlgorithmE0EEfLj256ELj4ELj100EEvPKT0_PS4_S4_,comdat
	.protected	_Z6kernelI14exclusive_scanILN6hipcub18BlockScanAlgorithmE0EEfLj256ELj4ELj100EEvPKT0_PS4_S4_ ; -- Begin function _Z6kernelI14exclusive_scanILN6hipcub18BlockScanAlgorithmE0EEfLj256ELj4ELj100EEvPKT0_PS4_S4_
	.globl	_Z6kernelI14exclusive_scanILN6hipcub18BlockScanAlgorithmE0EEfLj256ELj4ELj100EEvPKT0_PS4_S4_
	.p2align	8
	.type	_Z6kernelI14exclusive_scanILN6hipcub18BlockScanAlgorithmE0EEfLj256ELj4ELj100EEvPKT0_PS4_S4_,@function
_Z6kernelI14exclusive_scanILN6hipcub18BlockScanAlgorithmE0EEfLj256ELj4ELj100EEvPKT0_PS4_S4_: ; @_Z6kernelI14exclusive_scanILN6hipcub18BlockScanAlgorithmE0EEfLj256ELj4ELj100EEvPKT0_PS4_S4_
; %bb.0:
	s_load_dwordx4 s[24:27], s[0:1], 0x0
	s_load_dword s3, s[0:1], 0x24
	s_load_dword s28, s[0:1], 0x10
	v_mov_b32_e32 v11, 0
	v_mbcnt_lo_u32_b32 v1, -1, 0
	s_waitcnt lgkmcnt(0)
	v_mov_b32_e32 v2, s24
	s_and_b32 s0, s3, 0xffff
	s_mul_i32 s2, s2, s0
	v_mov_b32_e32 v3, s25
	v_add_lshl_u32 v10, s2, v0, 2
	v_lshl_add_u64 v[2:3], v[10:11], 2, v[2:3]
	global_load_dwordx4 v[2:5], v[2:3], off
	v_mbcnt_hi_u32_b32 v6, -1, v1
	v_and_b32_e32 v1, 15, v6
	v_cmp_eq_u32_e32 vcc, 0, v1
	v_cmp_lt_u32_e64 s[0:1], 1, v1
	v_cmp_lt_u32_e64 s[2:3], 3, v1
	;; [unrolled: 1-line block ×3, first 2 shown]
	v_and_b32_e32 v1, 16, v6
	v_cmp_eq_u32_e64 s[6:7], 0, v1
	v_or_b32_e32 v1, 63, v0
	v_cmp_eq_u32_e64 s[10:11], v1, v0
	v_add_u32_e32 v1, -1, v6
	v_and_b32_e32 v7, 64, v6
	v_cmp_lt_i32_e64 s[16:17], v1, v7
	v_lshrrev_b32_e32 v7, 4, v0
	v_cmp_lt_u32_e64 s[8:9], 31, v6
	v_cndmask_b32_e64 v1, v1, v6, s[16:17]
	v_cmp_eq_u32_e64 s[16:17], 0, v6
	v_and_b32_e32 v9, 12, v7
	v_and_b32_e32 v6, 3, v6
	v_cmp_gt_u32_e64 s[12:13], 4, v0
	v_cmp_lt_u32_e64 s[14:15], 63, v0
	v_lshlrev_b32_e32 v1, 2, v1
	v_cmp_eq_u32_e64 s[18:19], 0, v0
	v_lshlrev_b32_e32 v0, 2, v0
	v_cmp_eq_u32_e64 s[20:21], 0, v6
	v_cmp_lt_u32_e64 s[22:23], 1, v6
	v_add_u32_e32 v12, -4, v9
	s_movk_i32 s29, 0x64
	v_mov_b32_e32 v13, s28
.LBB194_1:                              ; =>This Inner Loop Header: Depth=1
	s_waitcnt vmcnt(0)
	v_add_f32_e32 v6, v2, v3
	v_add_f32_e32 v6, v4, v6
	;; [unrolled: 1-line block ×3, first 2 shown]
	s_nop 1
	v_mov_b32_dpp v6, v5 row_shr:1 row_mask:0xf bank_mask:0xf
	v_add_f32_e32 v6, v5, v6
	v_cndmask_b32_e32 v5, v6, v5, vcc
	s_nop 1
	v_mov_b32_dpp v6, v5 row_shr:2 row_mask:0xf bank_mask:0xf
	v_add_f32_e32 v6, v5, v6
	v_cndmask_b32_e64 v5, v5, v6, s[0:1]
	s_nop 1
	v_mov_b32_dpp v6, v5 row_shr:4 row_mask:0xf bank_mask:0xf
	v_add_f32_e32 v6, v5, v6
	v_cndmask_b32_e64 v5, v5, v6, s[2:3]
	;; [unrolled: 4-line block ×3, first 2 shown]
	s_nop 1
	v_mov_b32_dpp v6, v5 row_bcast:15 row_mask:0xf bank_mask:0xf
	v_add_f32_e32 v6, v5, v6
	v_cndmask_b32_e64 v5, v6, v5, s[6:7]
	s_nop 1
	v_mov_b32_dpp v6, v5 row_bcast:31 row_mask:0xf bank_mask:0xf
	v_add_f32_e32 v6, v5, v6
	v_cndmask_b32_e64 v5, v5, v6, s[8:9]
	s_and_saveexec_b64 s[24:25], s[10:11]
	s_cbranch_execz .LBB194_3
; %bb.2:                                ;   in Loop: Header=BB194_1 Depth=1
	ds_write_b32 v9, v5
.LBB194_3:                              ;   in Loop: Header=BB194_1 Depth=1
	s_or_b64 exec, exec, s[24:25]
	s_waitcnt lgkmcnt(0)
	s_barrier
	s_and_saveexec_b64 s[24:25], s[12:13]
	s_cbranch_execz .LBB194_5
; %bb.4:                                ;   in Loop: Header=BB194_1 Depth=1
	ds_read_b32 v6, v0
	s_waitcnt lgkmcnt(0)
	s_nop 0
	v_mov_b32_dpp v7, v6 row_shr:1 row_mask:0xf bank_mask:0xf
	v_add_f32_e32 v7, v6, v7
	v_cndmask_b32_e64 v6, v7, v6, s[20:21]
	s_nop 1
	v_mov_b32_dpp v7, v6 row_shr:2 row_mask:0xf bank_mask:0xf
	v_add_f32_e32 v7, v6, v7
	v_cndmask_b32_e64 v6, v6, v7, s[22:23]
	ds_write_b32 v0, v6
.LBB194_5:                              ;   in Loop: Header=BB194_1 Depth=1
	s_or_b64 exec, exec, s[24:25]
	v_mov_b32_e32 v6, s28
	s_waitcnt lgkmcnt(0)
	s_barrier
	s_and_saveexec_b64 s[24:25], s[14:15]
	s_cbranch_execz .LBB194_7
; %bb.6:                                ;   in Loop: Header=BB194_1 Depth=1
	ds_read_b32 v6, v12
	s_waitcnt lgkmcnt(0)
	v_add_f32_e32 v6, s28, v6
.LBB194_7:                              ;   in Loop: Header=BB194_1 Depth=1
	s_or_b64 exec, exec, s[24:25]
	v_add_f32_e32 v5, v5, v6
	ds_bpermute_b32 v5, v1, v5
	s_add_i32 s29, s29, -1
	s_cmp_lg_u32 s29, 0
	s_waitcnt lgkmcnt(0)
	v_cndmask_b32_e64 v5, v5, v6, s[16:17]
	v_cndmask_b32_e64 v6, v5, v13, s[18:19]
	v_add_f32_e32 v7, v2, v6
	v_add_f32_e32 v8, v3, v7
	;; [unrolled: 1-line block ×3, first 2 shown]
	s_cbranch_scc0 .LBB194_9
; %bb.8:                                ;   in Loop: Header=BB194_1 Depth=1
	v_mov_b32_e32 v2, v6
	v_mov_b32_e32 v3, v7
	;; [unrolled: 1-line block ×3, first 2 shown]
	s_branch .LBB194_1
.LBB194_9:
	v_mov_b32_e32 v0, s26
	v_mov_b32_e32 v1, s27
	v_lshl_add_u64 v[0:1], v[10:11], 2, v[0:1]
	v_mov_b32_e32 v9, v5
	global_store_dwordx4 v[0:1], v[6:9], off
	s_endpgm
	.section	.rodata,"a",@progbits
	.p2align	6, 0x0
	.amdhsa_kernel _Z6kernelI14exclusive_scanILN6hipcub18BlockScanAlgorithmE0EEfLj256ELj4ELj100EEvPKT0_PS4_S4_
		.amdhsa_group_segment_fixed_size 16
		.amdhsa_private_segment_fixed_size 0
		.amdhsa_kernarg_size 280
		.amdhsa_user_sgpr_count 2
		.amdhsa_user_sgpr_dispatch_ptr 0
		.amdhsa_user_sgpr_queue_ptr 0
		.amdhsa_user_sgpr_kernarg_segment_ptr 1
		.amdhsa_user_sgpr_dispatch_id 0
		.amdhsa_user_sgpr_kernarg_preload_length 0
		.amdhsa_user_sgpr_kernarg_preload_offset 0
		.amdhsa_user_sgpr_private_segment_size 0
		.amdhsa_uses_dynamic_stack 0
		.amdhsa_enable_private_segment 0
		.amdhsa_system_sgpr_workgroup_id_x 1
		.amdhsa_system_sgpr_workgroup_id_y 0
		.amdhsa_system_sgpr_workgroup_id_z 0
		.amdhsa_system_sgpr_workgroup_info 0
		.amdhsa_system_vgpr_workitem_id 0
		.amdhsa_next_free_vgpr 14
		.amdhsa_next_free_sgpr 30
		.amdhsa_accum_offset 16
		.amdhsa_reserve_vcc 1
		.amdhsa_float_round_mode_32 0
		.amdhsa_float_round_mode_16_64 0
		.amdhsa_float_denorm_mode_32 3
		.amdhsa_float_denorm_mode_16_64 3
		.amdhsa_dx10_clamp 1
		.amdhsa_ieee_mode 1
		.amdhsa_fp16_overflow 0
		.amdhsa_tg_split 0
		.amdhsa_exception_fp_ieee_invalid_op 0
		.amdhsa_exception_fp_denorm_src 0
		.amdhsa_exception_fp_ieee_div_zero 0
		.amdhsa_exception_fp_ieee_overflow 0
		.amdhsa_exception_fp_ieee_underflow 0
		.amdhsa_exception_fp_ieee_inexact 0
		.amdhsa_exception_int_div_zero 0
	.end_amdhsa_kernel
	.section	.text._Z6kernelI14exclusive_scanILN6hipcub18BlockScanAlgorithmE0EEfLj256ELj4ELj100EEvPKT0_PS4_S4_,"axG",@progbits,_Z6kernelI14exclusive_scanILN6hipcub18BlockScanAlgorithmE0EEfLj256ELj4ELj100EEvPKT0_PS4_S4_,comdat
.Lfunc_end194:
	.size	_Z6kernelI14exclusive_scanILN6hipcub18BlockScanAlgorithmE0EEfLj256ELj4ELj100EEvPKT0_PS4_S4_, .Lfunc_end194-_Z6kernelI14exclusive_scanILN6hipcub18BlockScanAlgorithmE0EEfLj256ELj4ELj100EEvPKT0_PS4_S4_
                                        ; -- End function
	.section	.AMDGPU.csdata,"",@progbits
; Kernel info:
; codeLenInByte = 668
; NumSgprs: 36
; NumVgprs: 14
; NumAgprs: 0
; TotalNumVgprs: 14
; ScratchSize: 0
; MemoryBound: 0
; FloatMode: 240
; IeeeMode: 1
; LDSByteSize: 16 bytes/workgroup (compile time only)
; SGPRBlocks: 4
; VGPRBlocks: 1
; NumSGPRsForWavesPerEU: 36
; NumVGPRsForWavesPerEU: 14
; AccumOffset: 16
; Occupancy: 8
; WaveLimiterHint : 0
; COMPUTE_PGM_RSRC2:SCRATCH_EN: 0
; COMPUTE_PGM_RSRC2:USER_SGPR: 2
; COMPUTE_PGM_RSRC2:TRAP_HANDLER: 0
; COMPUTE_PGM_RSRC2:TGID_X_EN: 1
; COMPUTE_PGM_RSRC2:TGID_Y_EN: 0
; COMPUTE_PGM_RSRC2:TGID_Z_EN: 0
; COMPUTE_PGM_RSRC2:TIDIG_COMP_CNT: 0
; COMPUTE_PGM_RSRC3_GFX90A:ACCUM_OFFSET: 3
; COMPUTE_PGM_RSRC3_GFX90A:TG_SPLIT: 0
	.section	.text._Z6kernelI14exclusive_scanILN6hipcub18BlockScanAlgorithmE0EEfLj256ELj8ELj100EEvPKT0_PS4_S4_,"axG",@progbits,_Z6kernelI14exclusive_scanILN6hipcub18BlockScanAlgorithmE0EEfLj256ELj8ELj100EEvPKT0_PS4_S4_,comdat
	.protected	_Z6kernelI14exclusive_scanILN6hipcub18BlockScanAlgorithmE0EEfLj256ELj8ELj100EEvPKT0_PS4_S4_ ; -- Begin function _Z6kernelI14exclusive_scanILN6hipcub18BlockScanAlgorithmE0EEfLj256ELj8ELj100EEvPKT0_PS4_S4_
	.globl	_Z6kernelI14exclusive_scanILN6hipcub18BlockScanAlgorithmE0EEfLj256ELj8ELj100EEvPKT0_PS4_S4_
	.p2align	8
	.type	_Z6kernelI14exclusive_scanILN6hipcub18BlockScanAlgorithmE0EEfLj256ELj8ELj100EEvPKT0_PS4_S4_,@function
_Z6kernelI14exclusive_scanILN6hipcub18BlockScanAlgorithmE0EEfLj256ELj8ELj100EEvPKT0_PS4_S4_: ; @_Z6kernelI14exclusive_scanILN6hipcub18BlockScanAlgorithmE0EEfLj256ELj8ELj100EEvPKT0_PS4_S4_
; %bb.0:
	s_load_dwordx4 s[24:27], s[0:1], 0x0
	s_load_dword s3, s[0:1], 0x24
	s_load_dword s28, s[0:1], 0x10
	v_mov_b32_e32 v19, 0
	v_mbcnt_lo_u32_b32 v1, -1, 0
	s_waitcnt lgkmcnt(0)
	v_mov_b32_e32 v2, s24
	s_and_b32 s0, s3, 0xffff
	s_mul_i32 s2, s2, s0
	v_mov_b32_e32 v3, s25
	v_add_lshl_u32 v18, s2, v0, 3
	v_lshl_add_u64 v[10:11], v[18:19], 2, v[2:3]
	global_load_dwordx4 v[6:9], v[10:11], off
	global_load_dwordx4 v[2:5], v[10:11], off offset:16
	v_mbcnt_hi_u32_b32 v10, -1, v1
	v_and_b32_e32 v1, 15, v10
	v_cmp_eq_u32_e32 vcc, 0, v1
	v_cmp_lt_u32_e64 s[0:1], 1, v1
	v_cmp_lt_u32_e64 s[2:3], 3, v1
	v_cmp_lt_u32_e64 s[4:5], 7, v1
	v_and_b32_e32 v1, 16, v10
	v_cmp_eq_u32_e64 s[6:7], 0, v1
	v_or_b32_e32 v1, 63, v0
	v_cmp_eq_u32_e64 s[10:11], v1, v0
	v_add_u32_e32 v1, -1, v10
	v_and_b32_e32 v11, 64, v10
	v_cmp_lt_i32_e64 s[16:17], v1, v11
	v_lshrrev_b32_e32 v11, 4, v0
	v_cmp_lt_u32_e64 s[8:9], 31, v10
	v_cndmask_b32_e64 v1, v1, v10, s[16:17]
	v_cmp_eq_u32_e64 s[16:17], 0, v10
	v_and_b32_e32 v17, 12, v11
	v_and_b32_e32 v10, 3, v10
	v_cmp_gt_u32_e64 s[12:13], 4, v0
	v_cmp_lt_u32_e64 s[14:15], 63, v0
	v_lshlrev_b32_e32 v1, 2, v1
	v_cmp_eq_u32_e64 s[18:19], 0, v0
	v_lshlrev_b32_e32 v0, 2, v0
	v_cmp_eq_u32_e64 s[20:21], 0, v10
	v_cmp_lt_u32_e64 s[22:23], 1, v10
	v_add_u32_e32 v20, -4, v17
	s_movk_i32 s29, 0x64
	v_mov_b32_e32 v21, s28
.LBB195_1:                              ; =>This Inner Loop Header: Depth=1
	s_waitcnt vmcnt(1)
	v_add_f32_e32 v10, v6, v7
	v_add_f32_e32 v10, v8, v10
	;; [unrolled: 1-line block ×3, first 2 shown]
	s_waitcnt vmcnt(0)
	v_add_f32_e32 v10, v2, v10
	v_add_f32_e32 v10, v3, v10
	;; [unrolled: 1-line block ×4, first 2 shown]
	s_nop 1
	v_mov_b32_dpp v10, v5 row_shr:1 row_mask:0xf bank_mask:0xf
	v_add_f32_e32 v10, v5, v10
	v_cndmask_b32_e32 v5, v10, v5, vcc
	s_nop 1
	v_mov_b32_dpp v10, v5 row_shr:2 row_mask:0xf bank_mask:0xf
	v_add_f32_e32 v10, v5, v10
	v_cndmask_b32_e64 v5, v5, v10, s[0:1]
	s_nop 1
	v_mov_b32_dpp v10, v5 row_shr:4 row_mask:0xf bank_mask:0xf
	v_add_f32_e32 v10, v5, v10
	v_cndmask_b32_e64 v5, v5, v10, s[2:3]
	;; [unrolled: 4-line block ×3, first 2 shown]
	s_nop 1
	v_mov_b32_dpp v10, v5 row_bcast:15 row_mask:0xf bank_mask:0xf
	v_add_f32_e32 v10, v5, v10
	v_cndmask_b32_e64 v5, v10, v5, s[6:7]
	s_nop 1
	v_mov_b32_dpp v10, v5 row_bcast:31 row_mask:0xf bank_mask:0xf
	v_add_f32_e32 v10, v5, v10
	v_cndmask_b32_e64 v5, v5, v10, s[8:9]
	s_and_saveexec_b64 s[24:25], s[10:11]
	s_cbranch_execz .LBB195_3
; %bb.2:                                ;   in Loop: Header=BB195_1 Depth=1
	ds_write_b32 v17, v5
.LBB195_3:                              ;   in Loop: Header=BB195_1 Depth=1
	s_or_b64 exec, exec, s[24:25]
	s_waitcnt lgkmcnt(0)
	s_barrier
	s_and_saveexec_b64 s[24:25], s[12:13]
	s_cbranch_execz .LBB195_5
; %bb.4:                                ;   in Loop: Header=BB195_1 Depth=1
	ds_read_b32 v10, v0
	s_waitcnt lgkmcnt(0)
	s_nop 0
	v_mov_b32_dpp v11, v10 row_shr:1 row_mask:0xf bank_mask:0xf
	v_add_f32_e32 v11, v10, v11
	v_cndmask_b32_e64 v10, v11, v10, s[20:21]
	s_nop 1
	v_mov_b32_dpp v11, v10 row_shr:2 row_mask:0xf bank_mask:0xf
	v_add_f32_e32 v11, v10, v11
	v_cndmask_b32_e64 v10, v10, v11, s[22:23]
	ds_write_b32 v0, v10
.LBB195_5:                              ;   in Loop: Header=BB195_1 Depth=1
	s_or_b64 exec, exec, s[24:25]
	v_mov_b32_e32 v10, s28
	s_waitcnt lgkmcnt(0)
	s_barrier
	s_and_saveexec_b64 s[24:25], s[14:15]
	s_cbranch_execz .LBB195_7
; %bb.6:                                ;   in Loop: Header=BB195_1 Depth=1
	ds_read_b32 v10, v20
	s_waitcnt lgkmcnt(0)
	v_add_f32_e32 v10, s28, v10
.LBB195_7:                              ;   in Loop: Header=BB195_1 Depth=1
	s_or_b64 exec, exec, s[24:25]
	v_add_f32_e32 v5, v5, v10
	ds_bpermute_b32 v5, v1, v5
	s_add_i32 s29, s29, -1
	s_cmp_lg_u32 s29, 0
	s_waitcnt lgkmcnt(0)
	v_cndmask_b32_e64 v5, v5, v10, s[16:17]
	v_cndmask_b32_e64 v14, v5, v21, s[18:19]
	v_add_f32_e32 v15, v6, v14
	v_add_f32_e32 v16, v7, v15
	v_add_f32_e32 v10, v8, v16
	v_add_f32_e32 v11, v9, v10
	v_add_f32_e32 v12, v2, v11
	v_add_f32_e32 v13, v3, v12
	v_add_f32_e32 v5, v4, v13
	s_cbranch_scc0 .LBB195_9
; %bb.8:                                ;   in Loop: Header=BB195_1 Depth=1
	v_mov_b32_e32 v6, v14
	v_mov_b32_e32 v7, v15
	;; [unrolled: 1-line block ×7, first 2 shown]
	s_branch .LBB195_1
.LBB195_9:
	v_mov_b32_e32 v0, s26
	v_mov_b32_e32 v1, s27
	v_lshl_add_u64 v[0:1], v[18:19], 2, v[0:1]
	global_store_dwordx3 v[0:1], v[14:16], off
	global_store_dwordx4 v[0:1], v[10:13], off offset:12
	global_store_dword v[0:1], v5, off offset:28
	s_endpgm
	.section	.rodata,"a",@progbits
	.p2align	6, 0x0
	.amdhsa_kernel _Z6kernelI14exclusive_scanILN6hipcub18BlockScanAlgorithmE0EEfLj256ELj8ELj100EEvPKT0_PS4_S4_
		.amdhsa_group_segment_fixed_size 16
		.amdhsa_private_segment_fixed_size 0
		.amdhsa_kernarg_size 280
		.amdhsa_user_sgpr_count 2
		.amdhsa_user_sgpr_dispatch_ptr 0
		.amdhsa_user_sgpr_queue_ptr 0
		.amdhsa_user_sgpr_kernarg_segment_ptr 1
		.amdhsa_user_sgpr_dispatch_id 0
		.amdhsa_user_sgpr_kernarg_preload_length 0
		.amdhsa_user_sgpr_kernarg_preload_offset 0
		.amdhsa_user_sgpr_private_segment_size 0
		.amdhsa_uses_dynamic_stack 0
		.amdhsa_enable_private_segment 0
		.amdhsa_system_sgpr_workgroup_id_x 1
		.amdhsa_system_sgpr_workgroup_id_y 0
		.amdhsa_system_sgpr_workgroup_id_z 0
		.amdhsa_system_sgpr_workgroup_info 0
		.amdhsa_system_vgpr_workitem_id 0
		.amdhsa_next_free_vgpr 22
		.amdhsa_next_free_sgpr 30
		.amdhsa_accum_offset 24
		.amdhsa_reserve_vcc 1
		.amdhsa_float_round_mode_32 0
		.amdhsa_float_round_mode_16_64 0
		.amdhsa_float_denorm_mode_32 3
		.amdhsa_float_denorm_mode_16_64 3
		.amdhsa_dx10_clamp 1
		.amdhsa_ieee_mode 1
		.amdhsa_fp16_overflow 0
		.amdhsa_tg_split 0
		.amdhsa_exception_fp_ieee_invalid_op 0
		.amdhsa_exception_fp_denorm_src 0
		.amdhsa_exception_fp_ieee_div_zero 0
		.amdhsa_exception_fp_ieee_overflow 0
		.amdhsa_exception_fp_ieee_underflow 0
		.amdhsa_exception_fp_ieee_inexact 0
		.amdhsa_exception_int_div_zero 0
	.end_amdhsa_kernel
	.section	.text._Z6kernelI14exclusive_scanILN6hipcub18BlockScanAlgorithmE0EEfLj256ELj8ELj100EEvPKT0_PS4_S4_,"axG",@progbits,_Z6kernelI14exclusive_scanILN6hipcub18BlockScanAlgorithmE0EEfLj256ELj8ELj100EEvPKT0_PS4_S4_,comdat
.Lfunc_end195:
	.size	_Z6kernelI14exclusive_scanILN6hipcub18BlockScanAlgorithmE0EEfLj256ELj8ELj100EEvPKT0_PS4_S4_, .Lfunc_end195-_Z6kernelI14exclusive_scanILN6hipcub18BlockScanAlgorithmE0EEfLj256ELj8ELj100EEvPKT0_PS4_S4_
                                        ; -- End function
	.section	.AMDGPU.csdata,"",@progbits
; Kernel info:
; codeLenInByte = 740
; NumSgprs: 36
; NumVgprs: 22
; NumAgprs: 0
; TotalNumVgprs: 22
; ScratchSize: 0
; MemoryBound: 0
; FloatMode: 240
; IeeeMode: 1
; LDSByteSize: 16 bytes/workgroup (compile time only)
; SGPRBlocks: 4
; VGPRBlocks: 2
; NumSGPRsForWavesPerEU: 36
; NumVGPRsForWavesPerEU: 22
; AccumOffset: 24
; Occupancy: 8
; WaveLimiterHint : 0
; COMPUTE_PGM_RSRC2:SCRATCH_EN: 0
; COMPUTE_PGM_RSRC2:USER_SGPR: 2
; COMPUTE_PGM_RSRC2:TRAP_HANDLER: 0
; COMPUTE_PGM_RSRC2:TGID_X_EN: 1
; COMPUTE_PGM_RSRC2:TGID_Y_EN: 0
; COMPUTE_PGM_RSRC2:TGID_Z_EN: 0
; COMPUTE_PGM_RSRC2:TIDIG_COMP_CNT: 0
; COMPUTE_PGM_RSRC3_GFX90A:ACCUM_OFFSET: 5
; COMPUTE_PGM_RSRC3_GFX90A:TG_SPLIT: 0
	.section	.text._Z6kernelI14exclusive_scanILN6hipcub18BlockScanAlgorithmE0EEfLj256ELj11ELj100EEvPKT0_PS4_S4_,"axG",@progbits,_Z6kernelI14exclusive_scanILN6hipcub18BlockScanAlgorithmE0EEfLj256ELj11ELj100EEvPKT0_PS4_S4_,comdat
	.protected	_Z6kernelI14exclusive_scanILN6hipcub18BlockScanAlgorithmE0EEfLj256ELj11ELj100EEvPKT0_PS4_S4_ ; -- Begin function _Z6kernelI14exclusive_scanILN6hipcub18BlockScanAlgorithmE0EEfLj256ELj11ELj100EEvPKT0_PS4_S4_
	.globl	_Z6kernelI14exclusive_scanILN6hipcub18BlockScanAlgorithmE0EEfLj256ELj11ELj100EEvPKT0_PS4_S4_
	.p2align	8
	.type	_Z6kernelI14exclusive_scanILN6hipcub18BlockScanAlgorithmE0EEfLj256ELj11ELj100EEvPKT0_PS4_S4_,@function
_Z6kernelI14exclusive_scanILN6hipcub18BlockScanAlgorithmE0EEfLj256ELj11ELj100EEvPKT0_PS4_S4_: ; @_Z6kernelI14exclusive_scanILN6hipcub18BlockScanAlgorithmE0EEfLj256ELj11ELj100EEvPKT0_PS4_S4_
; %bb.0:
	s_load_dword s3, s[0:1], 0x24
	s_load_dwordx4 s[24:27], s[0:1], 0x0
	s_load_dword s28, s[0:1], 0x10
	v_mov_b32_e32 v3, 0
	v_mov_b32_e32 v5, v3
	s_waitcnt lgkmcnt(0)
	s_and_b32 s0, s3, 0xffff
	s_mul_i32 s2, s2, s0
	v_add_u32_e32 v1, s2, v0
	v_mul_lo_u32 v2, v1, 11
	v_lshl_add_u64 v[18:19], v[2:3], 2, s[24:25]
	v_add_u32_e32 v4, 1, v2
	v_add_u32_e32 v6, 2, v2
	v_mov_b32_e32 v7, v3
	v_add_u32_e32 v8, 3, v2
	v_mov_b32_e32 v9, v3
	;; [unrolled: 2-line block ×6, first 2 shown]
	v_lshl_add_u64 v[20:21], v[4:5], 2, s[24:25]
	v_lshl_add_u64 v[22:23], v[6:7], 2, s[24:25]
	;; [unrolled: 1-line block ×7, first 2 shown]
	global_load_dword v30, v[18:19], off
	global_load_dword v29, v[20:21], off
	;; [unrolled: 1-line block ×8, first 2 shown]
	v_add_u32_e32 v18, 8, v2
	v_mov_b32_e32 v19, v3
	v_lshl_add_u64 v[34:35], v[18:19], 2, s[24:25]
	v_add_u32_e32 v20, 9, v2
	v_mov_b32_e32 v21, v3
	v_add_u32_e32 v22, 10, v2
	v_mov_b32_e32 v23, v3
	v_lshl_add_u64 v[38:39], v[20:21], 2, s[24:25]
	v_lshl_add_u64 v[40:41], v[22:23], 2, s[24:25]
	global_load_dword v32, v[34:35], off
	global_load_dword v31, v[38:39], off
	;; [unrolled: 1-line block ×3, first 2 shown]
	v_mbcnt_lo_u32_b32 v33, -1, 0
	v_mbcnt_hi_u32_b32 v35, -1, v33
	v_and_b32_e32 v33, 15, v35
	v_cmp_eq_u32_e32 vcc, 0, v33
	v_cmp_lt_u32_e64 s[0:1], 1, v33
	v_cmp_lt_u32_e64 s[2:3], 3, v33
	;; [unrolled: 1-line block ×3, first 2 shown]
	v_and_b32_e32 v33, 16, v35
	v_cmp_eq_u32_e64 s[6:7], 0, v33
	v_or_b32_e32 v33, 63, v0
	v_cmp_eq_u32_e64 s[10:11], v33, v0
	v_add_u32_e32 v33, -1, v35
	v_and_b32_e32 v34, 64, v35
	v_cmp_lt_i32_e64 s[16:17], v33, v34
	v_lshrrev_b32_e32 v34, 4, v0
	v_cmp_lt_u32_e64 s[8:9], 31, v35
	v_cndmask_b32_e64 v33, v33, v35, s[16:17]
	v_cmp_eq_u32_e64 s[16:17], 0, v35
	v_and_b32_e32 v34, 12, v34
	v_and_b32_e32 v35, 3, v35
	v_cmp_gt_u32_e64 s[12:13], 4, v0
	v_cmp_lt_u32_e64 s[14:15], 63, v0
	v_lshlrev_b32_e32 v33, 2, v33
	v_cmp_eq_u32_e64 s[18:19], 0, v0
	v_lshlrev_b32_e32 v0, 2, v0
	v_cmp_eq_u32_e64 s[20:21], 0, v35
	v_cmp_lt_u32_e64 s[22:23], 1, v35
	v_add_u32_e32 v35, -4, v34
	s_movk_i32 s29, 0x64
.LBB196_1:                              ; =>This Inner Loop Header: Depth=1
	s_waitcnt vmcnt(9)
	v_add_f32_e32 v37, v29, v30
	s_waitcnt vmcnt(8)
	v_add_f32_e32 v37, v28, v37
	;; [unrolled: 2-line block ×10, first 2 shown]
	s_nop 1
	v_mov_b32_dpp v37, v36 row_shr:1 row_mask:0xf bank_mask:0xf
	v_add_f32_e32 v37, v36, v37
	v_cndmask_b32_e32 v36, v37, v36, vcc
	s_nop 1
	v_mov_b32_dpp v37, v36 row_shr:2 row_mask:0xf bank_mask:0xf
	v_add_f32_e32 v37, v36, v37
	v_cndmask_b32_e64 v36, v36, v37, s[0:1]
	s_nop 1
	v_mov_b32_dpp v37, v36 row_shr:4 row_mask:0xf bank_mask:0xf
	v_add_f32_e32 v37, v36, v37
	v_cndmask_b32_e64 v36, v36, v37, s[2:3]
	s_nop 1
	v_mov_b32_dpp v37, v36 row_shr:8 row_mask:0xf bank_mask:0xf
	v_add_f32_e32 v37, v36, v37
	v_cndmask_b32_e64 v36, v36, v37, s[4:5]
	s_nop 1
	v_mov_b32_dpp v37, v36 row_bcast:15 row_mask:0xf bank_mask:0xf
	v_add_f32_e32 v37, v36, v37
	v_cndmask_b32_e64 v36, v37, v36, s[6:7]
	s_nop 1
	v_mov_b32_dpp v37, v36 row_bcast:31 row_mask:0xf bank_mask:0xf
	v_add_f32_e32 v37, v36, v37
	v_cndmask_b32_e64 v36, v36, v37, s[8:9]
	s_and_saveexec_b64 s[24:25], s[10:11]
	s_cbranch_execz .LBB196_3
; %bb.2:                                ;   in Loop: Header=BB196_1 Depth=1
	ds_write_b32 v34, v36
.LBB196_3:                              ;   in Loop: Header=BB196_1 Depth=1
	s_or_b64 exec, exec, s[24:25]
	s_waitcnt lgkmcnt(0)
	s_barrier
	s_and_saveexec_b64 s[24:25], s[12:13]
	s_cbranch_execz .LBB196_5
; %bb.4:                                ;   in Loop: Header=BB196_1 Depth=1
	ds_read_b32 v37, v0
	s_waitcnt lgkmcnt(0)
	s_nop 0
	v_mov_b32_dpp v38, v37 row_shr:1 row_mask:0xf bank_mask:0xf
	v_add_f32_e32 v38, v37, v38
	v_cndmask_b32_e64 v37, v38, v37, s[20:21]
	s_nop 1
	v_mov_b32_dpp v38, v37 row_shr:2 row_mask:0xf bank_mask:0xf
	v_add_f32_e32 v38, v37, v38
	v_cndmask_b32_e64 v37, v37, v38, s[22:23]
	ds_write_b32 v0, v37
.LBB196_5:                              ;   in Loop: Header=BB196_1 Depth=1
	s_or_b64 exec, exec, s[24:25]
	v_mov_b32_e32 v37, s28
	s_waitcnt lgkmcnt(0)
	s_barrier
	s_and_saveexec_b64 s[24:25], s[14:15]
	s_cbranch_execz .LBB196_7
; %bb.6:                                ;   in Loop: Header=BB196_1 Depth=1
	ds_read_b32 v37, v35
	s_waitcnt lgkmcnt(0)
	v_add_f32_e32 v37, s28, v37
.LBB196_7:                              ;   in Loop: Header=BB196_1 Depth=1
	s_or_b64 exec, exec, s[24:25]
	v_add_f32_e32 v36, v36, v37
	ds_bpermute_b32 v36, v33, v36
	v_mov_b32_e32 v38, s28
	s_add_i32 s29, s29, -1
	s_cmp_lg_u32 s29, 0
	s_waitcnt lgkmcnt(0)
	v_cndmask_b32_e64 v36, v36, v37, s[16:17]
	v_cndmask_b32_e64 v37, v36, v38, s[18:19]
	v_add_f32_e32 v30, v30, v37
	v_add_f32_e32 v29, v29, v30
	;; [unrolled: 1-line block ×10, first 2 shown]
	s_cbranch_scc0 .LBB196_9
; %bb.8:                                ;   in Loop: Header=BB196_1 Depth=1
	v_mov_b32_e32 v31, v32
	v_mov_b32_e32 v32, v1
	;; [unrolled: 1-line block ×10, first 2 shown]
	s_branch .LBB196_1
.LBB196_9:
	v_lshl_add_u64 v[2:3], v[2:3], 2, s[26:27]
	global_store_dword v[2:3], v37, off
	v_lshl_add_u64 v[2:3], v[4:5], 2, s[26:27]
	global_store_dword v[2:3], v30, off
	;; [unrolled: 2-line block ×11, first 2 shown]
	s_endpgm
	.section	.rodata,"a",@progbits
	.p2align	6, 0x0
	.amdhsa_kernel _Z6kernelI14exclusive_scanILN6hipcub18BlockScanAlgorithmE0EEfLj256ELj11ELj100EEvPKT0_PS4_S4_
		.amdhsa_group_segment_fixed_size 16
		.amdhsa_private_segment_fixed_size 0
		.amdhsa_kernarg_size 280
		.amdhsa_user_sgpr_count 2
		.amdhsa_user_sgpr_dispatch_ptr 0
		.amdhsa_user_sgpr_queue_ptr 0
		.amdhsa_user_sgpr_kernarg_segment_ptr 1
		.amdhsa_user_sgpr_dispatch_id 0
		.amdhsa_user_sgpr_kernarg_preload_length 0
		.amdhsa_user_sgpr_kernarg_preload_offset 0
		.amdhsa_user_sgpr_private_segment_size 0
		.amdhsa_uses_dynamic_stack 0
		.amdhsa_enable_private_segment 0
		.amdhsa_system_sgpr_workgroup_id_x 1
		.amdhsa_system_sgpr_workgroup_id_y 0
		.amdhsa_system_sgpr_workgroup_id_z 0
		.amdhsa_system_sgpr_workgroup_info 0
		.amdhsa_system_vgpr_workitem_id 0
		.amdhsa_next_free_vgpr 42
		.amdhsa_next_free_sgpr 30
		.amdhsa_accum_offset 44
		.amdhsa_reserve_vcc 1
		.amdhsa_float_round_mode_32 0
		.amdhsa_float_round_mode_16_64 0
		.amdhsa_float_denorm_mode_32 3
		.amdhsa_float_denorm_mode_16_64 3
		.amdhsa_dx10_clamp 1
		.amdhsa_ieee_mode 1
		.amdhsa_fp16_overflow 0
		.amdhsa_tg_split 0
		.amdhsa_exception_fp_ieee_invalid_op 0
		.amdhsa_exception_fp_denorm_src 0
		.amdhsa_exception_fp_ieee_div_zero 0
		.amdhsa_exception_fp_ieee_overflow 0
		.amdhsa_exception_fp_ieee_underflow 0
		.amdhsa_exception_fp_ieee_inexact 0
		.amdhsa_exception_int_div_zero 0
	.end_amdhsa_kernel
	.section	.text._Z6kernelI14exclusive_scanILN6hipcub18BlockScanAlgorithmE0EEfLj256ELj11ELj100EEvPKT0_PS4_S4_,"axG",@progbits,_Z6kernelI14exclusive_scanILN6hipcub18BlockScanAlgorithmE0EEfLj256ELj11ELj100EEvPKT0_PS4_S4_,comdat
.Lfunc_end196:
	.size	_Z6kernelI14exclusive_scanILN6hipcub18BlockScanAlgorithmE0EEfLj256ELj11ELj100EEvPKT0_PS4_S4_, .Lfunc_end196-_Z6kernelI14exclusive_scanILN6hipcub18BlockScanAlgorithmE0EEfLj256ELj11ELj100EEvPKT0_PS4_S4_
                                        ; -- End function
	.section	.AMDGPU.csdata,"",@progbits
; Kernel info:
; codeLenInByte = 1172
; NumSgprs: 36
; NumVgprs: 42
; NumAgprs: 0
; TotalNumVgprs: 42
; ScratchSize: 0
; MemoryBound: 0
; FloatMode: 240
; IeeeMode: 1
; LDSByteSize: 16 bytes/workgroup (compile time only)
; SGPRBlocks: 4
; VGPRBlocks: 5
; NumSGPRsForWavesPerEU: 36
; NumVGPRsForWavesPerEU: 42
; AccumOffset: 44
; Occupancy: 8
; WaveLimiterHint : 0
; COMPUTE_PGM_RSRC2:SCRATCH_EN: 0
; COMPUTE_PGM_RSRC2:USER_SGPR: 2
; COMPUTE_PGM_RSRC2:TRAP_HANDLER: 0
; COMPUTE_PGM_RSRC2:TGID_X_EN: 1
; COMPUTE_PGM_RSRC2:TGID_Y_EN: 0
; COMPUTE_PGM_RSRC2:TGID_Z_EN: 0
; COMPUTE_PGM_RSRC2:TIDIG_COMP_CNT: 0
; COMPUTE_PGM_RSRC3_GFX90A:ACCUM_OFFSET: 10
; COMPUTE_PGM_RSRC3_GFX90A:TG_SPLIT: 0
	.section	.text._Z6kernelI14exclusive_scanILN6hipcub18BlockScanAlgorithmE0EEfLj256ELj16ELj100EEvPKT0_PS4_S4_,"axG",@progbits,_Z6kernelI14exclusive_scanILN6hipcub18BlockScanAlgorithmE0EEfLj256ELj16ELj100EEvPKT0_PS4_S4_,comdat
	.protected	_Z6kernelI14exclusive_scanILN6hipcub18BlockScanAlgorithmE0EEfLj256ELj16ELj100EEvPKT0_PS4_S4_ ; -- Begin function _Z6kernelI14exclusive_scanILN6hipcub18BlockScanAlgorithmE0EEfLj256ELj16ELj100EEvPKT0_PS4_S4_
	.globl	_Z6kernelI14exclusive_scanILN6hipcub18BlockScanAlgorithmE0EEfLj256ELj16ELj100EEvPKT0_PS4_S4_
	.p2align	8
	.type	_Z6kernelI14exclusive_scanILN6hipcub18BlockScanAlgorithmE0EEfLj256ELj16ELj100EEvPKT0_PS4_S4_,@function
_Z6kernelI14exclusive_scanILN6hipcub18BlockScanAlgorithmE0EEfLj256ELj16ELj100EEvPKT0_PS4_S4_: ; @_Z6kernelI14exclusive_scanILN6hipcub18BlockScanAlgorithmE0EEfLj256ELj16ELj100EEvPKT0_PS4_S4_
; %bb.0:
	s_load_dwordx4 s[24:27], s[0:1], 0x0
	s_load_dword s3, s[0:1], 0x24
	s_load_dword s28, s[0:1], 0x10
	v_mov_b32_e32 v27, 0
	v_mbcnt_lo_u32_b32 v1, -1, 0
	s_waitcnt lgkmcnt(0)
	v_mov_b32_e32 v2, s24
	s_and_b32 s0, s3, 0xffff
	s_mul_i32 s2, s2, s0
	v_mov_b32_e32 v3, s25
	v_add_lshl_u32 v26, s2, v0, 4
	v_lshl_add_u64 v[18:19], v[26:27], 2, v[2:3]
	global_load_dwordx4 v[2:5], v[18:19], off offset:48
	global_load_dwordx4 v[6:9], v[18:19], off offset:32
	global_load_dwordx4 v[10:13], v[18:19], off
	global_load_dwordx4 v[14:17], v[18:19], off offset:16
	v_mbcnt_hi_u32_b32 v1, -1, v1
	v_and_b32_e32 v18, 15, v1
	v_cmp_eq_u32_e32 vcc, 0, v18
	v_cmp_lt_u32_e64 s[0:1], 1, v18
	v_cmp_lt_u32_e64 s[2:3], 3, v18
	;; [unrolled: 1-line block ×3, first 2 shown]
	v_and_b32_e32 v18, 16, v1
	v_cmp_eq_u32_e64 s[6:7], 0, v18
	v_or_b32_e32 v18, 63, v0
	v_cmp_eq_u32_e64 s[10:11], v18, v0
	v_add_u32_e32 v18, -1, v1
	v_and_b32_e32 v19, 64, v1
	v_cmp_lt_i32_e64 s[16:17], v18, v19
	v_cmp_gt_u32_e64 s[12:13], 4, v0
	v_cmp_lt_u32_e64 s[14:15], 63, v0
	v_cndmask_b32_e64 v18, v18, v1, s[16:17]
	v_lshlrev_b32_e32 v28, 2, v18
	v_lshrrev_b32_e32 v18, 4, v0
	v_cmp_eq_u32_e64 s[18:19], 0, v0
	v_and_b32_e32 v29, 12, v18
	v_lshlrev_b32_e32 v30, 2, v0
	v_and_b32_e32 v0, 3, v1
	v_cmp_lt_u32_e64 s[8:9], 31, v1
	v_cmp_eq_u32_e64 s[16:17], 0, v1
	v_cmp_eq_u32_e64 s[20:21], 0, v0
	v_cmp_lt_u32_e64 s[22:23], 1, v0
	v_add_u32_e32 v31, -4, v29
	s_movk_i32 s29, 0x64
.LBB197_1:                              ; =>This Inner Loop Header: Depth=1
	s_waitcnt vmcnt(1)
	v_add_f32_e32 v0, v11, v10
	v_add_f32_e32 v0, v12, v0
	;; [unrolled: 1-line block ×3, first 2 shown]
	s_waitcnt vmcnt(0)
	v_add_f32_e32 v0, v14, v0
	v_add_f32_e32 v0, v15, v0
	;; [unrolled: 1-line block ×12, first 2 shown]
	s_nop 1
	v_mov_b32_dpp v1, v0 row_shr:1 row_mask:0xf bank_mask:0xf
	v_add_f32_e32 v1, v0, v1
	v_cndmask_b32_e32 v0, v1, v0, vcc
	s_nop 1
	v_mov_b32_dpp v1, v0 row_shr:2 row_mask:0xf bank_mask:0xf
	v_add_f32_e32 v1, v0, v1
	v_cndmask_b32_e64 v0, v0, v1, s[0:1]
	s_nop 1
	v_mov_b32_dpp v1, v0 row_shr:4 row_mask:0xf bank_mask:0xf
	v_add_f32_e32 v1, v0, v1
	v_cndmask_b32_e64 v0, v0, v1, s[2:3]
	;; [unrolled: 4-line block ×3, first 2 shown]
	s_nop 1
	v_mov_b32_dpp v1, v0 row_bcast:15 row_mask:0xf bank_mask:0xf
	v_add_f32_e32 v1, v0, v1
	v_cndmask_b32_e64 v0, v1, v0, s[6:7]
	s_nop 1
	v_mov_b32_dpp v1, v0 row_bcast:31 row_mask:0xf bank_mask:0xf
	v_add_f32_e32 v1, v0, v1
	v_cndmask_b32_e64 v0, v0, v1, s[8:9]
	s_and_saveexec_b64 s[24:25], s[10:11]
	s_cbranch_execz .LBB197_3
; %bb.2:                                ;   in Loop: Header=BB197_1 Depth=1
	ds_write_b32 v29, v0
.LBB197_3:                              ;   in Loop: Header=BB197_1 Depth=1
	s_or_b64 exec, exec, s[24:25]
	s_waitcnt lgkmcnt(0)
	s_barrier
	s_and_saveexec_b64 s[24:25], s[12:13]
	s_cbranch_execz .LBB197_5
; %bb.4:                                ;   in Loop: Header=BB197_1 Depth=1
	ds_read_b32 v1, v30
	s_waitcnt lgkmcnt(0)
	s_nop 0
	v_mov_b32_dpp v5, v1 row_shr:1 row_mask:0xf bank_mask:0xf
	v_add_f32_e32 v5, v1, v5
	v_cndmask_b32_e64 v1, v5, v1, s[20:21]
	s_nop 1
	v_mov_b32_dpp v5, v1 row_shr:2 row_mask:0xf bank_mask:0xf
	v_add_f32_e32 v5, v1, v5
	v_cndmask_b32_e64 v1, v1, v5, s[22:23]
	ds_write_b32 v30, v1
.LBB197_5:                              ;   in Loop: Header=BB197_1 Depth=1
	s_or_b64 exec, exec, s[24:25]
	v_mov_b32_e32 v1, s28
	s_waitcnt lgkmcnt(0)
	s_barrier
	s_and_saveexec_b64 s[24:25], s[14:15]
	s_cbranch_execz .LBB197_7
; %bb.6:                                ;   in Loop: Header=BB197_1 Depth=1
	ds_read_b32 v1, v31
	s_waitcnt lgkmcnt(0)
	v_add_f32_e32 v1, s28, v1
.LBB197_7:                              ;   in Loop: Header=BB197_1 Depth=1
	s_or_b64 exec, exec, s[24:25]
	v_add_f32_e32 v0, v0, v1
	ds_bpermute_b32 v0, v28, v0
	v_mov_b32_e32 v5, s28
	s_add_i32 s29, s29, -1
	s_cmp_lg_u32 s29, 0
	s_waitcnt lgkmcnt(0)
	v_cndmask_b32_e64 v0, v0, v1, s[16:17]
	v_cndmask_b32_e64 v18, v0, v5, s[18:19]
	v_add_f32_e32 v19, v10, v18
	v_add_f32_e32 v20, v11, v19
	;; [unrolled: 1-line block ×15, first 2 shown]
	s_cbranch_scc0 .LBB197_9
; %bb.8:                                ;   in Loop: Header=BB197_1 Depth=1
	v_mov_b32_e32 v11, v19
	v_mov_b32_e32 v10, v18
	;; [unrolled: 1-line block ×15, first 2 shown]
	s_branch .LBB197_1
.LBB197_9:
	v_mov_b32_e32 v6, s26
	v_mov_b32_e32 v7, s27
	v_lshl_add_u64 v[6:7], v[26:27], 2, v[6:7]
	v_mov_b32_e32 v3, v5
	global_store_dwordx4 v[6:7], v[18:21], off
	global_store_dwordx4 v[6:7], v[12:15], off offset:16
	global_store_dwordx4 v[6:7], v[22:25], off offset:32
	;; [unrolled: 1-line block ×3, first 2 shown]
	s_endpgm
	.section	.rodata,"a",@progbits
	.p2align	6, 0x0
	.amdhsa_kernel _Z6kernelI14exclusive_scanILN6hipcub18BlockScanAlgorithmE0EEfLj256ELj16ELj100EEvPKT0_PS4_S4_
		.amdhsa_group_segment_fixed_size 16
		.amdhsa_private_segment_fixed_size 0
		.amdhsa_kernarg_size 280
		.amdhsa_user_sgpr_count 2
		.amdhsa_user_sgpr_dispatch_ptr 0
		.amdhsa_user_sgpr_queue_ptr 0
		.amdhsa_user_sgpr_kernarg_segment_ptr 1
		.amdhsa_user_sgpr_dispatch_id 0
		.amdhsa_user_sgpr_kernarg_preload_length 0
		.amdhsa_user_sgpr_kernarg_preload_offset 0
		.amdhsa_user_sgpr_private_segment_size 0
		.amdhsa_uses_dynamic_stack 0
		.amdhsa_enable_private_segment 0
		.amdhsa_system_sgpr_workgroup_id_x 1
		.amdhsa_system_sgpr_workgroup_id_y 0
		.amdhsa_system_sgpr_workgroup_id_z 0
		.amdhsa_system_sgpr_workgroup_info 0
		.amdhsa_system_vgpr_workitem_id 0
		.amdhsa_next_free_vgpr 32
		.amdhsa_next_free_sgpr 30
		.amdhsa_accum_offset 32
		.amdhsa_reserve_vcc 1
		.amdhsa_float_round_mode_32 0
		.amdhsa_float_round_mode_16_64 0
		.amdhsa_float_denorm_mode_32 3
		.amdhsa_float_denorm_mode_16_64 3
		.amdhsa_dx10_clamp 1
		.amdhsa_ieee_mode 1
		.amdhsa_fp16_overflow 0
		.amdhsa_tg_split 0
		.amdhsa_exception_fp_ieee_invalid_op 0
		.amdhsa_exception_fp_denorm_src 0
		.amdhsa_exception_fp_ieee_div_zero 0
		.amdhsa_exception_fp_ieee_overflow 0
		.amdhsa_exception_fp_ieee_underflow 0
		.amdhsa_exception_fp_ieee_inexact 0
		.amdhsa_exception_int_div_zero 0
	.end_amdhsa_kernel
	.section	.text._Z6kernelI14exclusive_scanILN6hipcub18BlockScanAlgorithmE0EEfLj256ELj16ELj100EEvPKT0_PS4_S4_,"axG",@progbits,_Z6kernelI14exclusive_scanILN6hipcub18BlockScanAlgorithmE0EEfLj256ELj16ELj100EEvPKT0_PS4_S4_,comdat
.Lfunc_end197:
	.size	_Z6kernelI14exclusive_scanILN6hipcub18BlockScanAlgorithmE0EEfLj256ELj16ELj100EEvPKT0_PS4_S4_, .Lfunc_end197-_Z6kernelI14exclusive_scanILN6hipcub18BlockScanAlgorithmE0EEfLj256ELj16ELj100EEvPKT0_PS4_S4_
                                        ; -- End function
	.section	.AMDGPU.csdata,"",@progbits
; Kernel info:
; codeLenInByte = 864
; NumSgprs: 36
; NumVgprs: 32
; NumAgprs: 0
; TotalNumVgprs: 32
; ScratchSize: 0
; MemoryBound: 0
; FloatMode: 240
; IeeeMode: 1
; LDSByteSize: 16 bytes/workgroup (compile time only)
; SGPRBlocks: 4
; VGPRBlocks: 3
; NumSGPRsForWavesPerEU: 36
; NumVGPRsForWavesPerEU: 32
; AccumOffset: 32
; Occupancy: 8
; WaveLimiterHint : 0
; COMPUTE_PGM_RSRC2:SCRATCH_EN: 0
; COMPUTE_PGM_RSRC2:USER_SGPR: 2
; COMPUTE_PGM_RSRC2:TRAP_HANDLER: 0
; COMPUTE_PGM_RSRC2:TGID_X_EN: 1
; COMPUTE_PGM_RSRC2:TGID_Y_EN: 0
; COMPUTE_PGM_RSRC2:TGID_Z_EN: 0
; COMPUTE_PGM_RSRC2:TIDIG_COMP_CNT: 0
; COMPUTE_PGM_RSRC3_GFX90A:ACCUM_OFFSET: 7
; COMPUTE_PGM_RSRC3_GFX90A:TG_SPLIT: 0
	.section	.text._Z6kernelI14exclusive_scanILN6hipcub18BlockScanAlgorithmE0EEdLj256ELj1ELj100EEvPKT0_PS4_S4_,"axG",@progbits,_Z6kernelI14exclusive_scanILN6hipcub18BlockScanAlgorithmE0EEdLj256ELj1ELj100EEvPKT0_PS4_S4_,comdat
	.protected	_Z6kernelI14exclusive_scanILN6hipcub18BlockScanAlgorithmE0EEdLj256ELj1ELj100EEvPKT0_PS4_S4_ ; -- Begin function _Z6kernelI14exclusive_scanILN6hipcub18BlockScanAlgorithmE0EEdLj256ELj1ELj100EEvPKT0_PS4_S4_
	.globl	_Z6kernelI14exclusive_scanILN6hipcub18BlockScanAlgorithmE0EEdLj256ELj1ELj100EEvPKT0_PS4_S4_
	.p2align	8
	.type	_Z6kernelI14exclusive_scanILN6hipcub18BlockScanAlgorithmE0EEdLj256ELj1ELj100EEvPKT0_PS4_S4_,@function
_Z6kernelI14exclusive_scanILN6hipcub18BlockScanAlgorithmE0EEdLj256ELj1ELj100EEvPKT0_PS4_S4_: ; @_Z6kernelI14exclusive_scanILN6hipcub18BlockScanAlgorithmE0EEdLj256ELj1ELj100EEvPKT0_PS4_S4_
; %bb.0:
	s_load_dwordx4 s[20:23], s[0:1], 0x0
	s_load_dword s3, s[0:1], 0x24
	s_load_dwordx2 s[24:25], s[0:1], 0x10
	v_mov_b32_e32 v3, 0
	v_mbcnt_lo_u32_b32 v1, -1, 0
	s_waitcnt lgkmcnt(0)
	v_mov_b32_e32 v4, s20
	s_and_b32 s0, s3, 0xffff
	s_mul_i32 s2, s2, s0
	v_mov_b32_e32 v5, s21
	v_add_u32_e32 v2, s2, v0
	v_lshl_add_u64 v[4:5], v[2:3], 3, v[4:5]
	global_load_dwordx2 v[4:5], v[4:5], off
	v_mbcnt_hi_u32_b32 v1, -1, v1
	v_and_b32_e32 v6, 15, v1
	v_cmp_eq_u32_e32 vcc, 0, v6
	v_cmp_lt_u32_e64 s[0:1], 1, v6
	v_cmp_lt_u32_e64 s[2:3], 3, v6
	;; [unrolled: 1-line block ×3, first 2 shown]
	v_and_b32_e32 v6, 16, v1
	v_cmp_eq_u32_e64 s[6:7], 0, v6
	v_or_b32_e32 v6, 63, v0
	v_cmp_eq_u32_e64 s[10:11], v6, v0
	v_add_u32_e32 v6, -1, v1
	v_and_b32_e32 v7, 64, v1
	v_cmp_lt_i32_e64 s[16:17], v6, v7
	v_lshrrev_b32_e32 v7, 3, v0
	v_cmp_gt_u32_e64 s[12:13], 4, v0
	v_cmp_lt_u32_e64 s[14:15], 63, v0
	v_cndmask_b32_e64 v6, v6, v1, s[16:17]
	v_and_b32_e32 v7, 24, v7
	v_lshlrev_b32_e32 v8, 3, v0
	v_and_b32_e32 v0, 3, v1
	v_cmp_eq_u32_e64 s[8:9], 0, v1
	v_lshlrev_b32_e32 v6, 2, v6
	v_cmp_lt_u32_e64 s[16:17], 31, v1
	v_cmp_eq_u32_e64 s[18:19], 0, v0
	v_cmp_lt_u32_e64 s[20:21], 1, v0
	v_add_u32_e32 v9, -8, v7
	s_movk_i32 s28, 0x64
	s_branch .LBB198_2
.LBB198_1:                              ;   in Loop: Header=BB198_2 Depth=1
	s_or_b64 exec, exec, s[26:27]
	v_add_f64 v[0:1], v[0:1], v[4:5]
	ds_bpermute_b32 v1, v6, v1
	ds_bpermute_b32 v0, v6, v0
	s_add_i32 s28, s28, -1
	s_cmp_lg_u32 s28, 0
	s_waitcnt lgkmcnt(1)
	v_cndmask_b32_e64 v5, v1, v5, s[8:9]
	s_waitcnt lgkmcnt(0)
	v_cndmask_b32_e64 v4, v0, v4, s[8:9]
	s_cbranch_scc0 .LBB198_8
.LBB198_2:                              ; =>This Inner Loop Header: Depth=1
	s_waitcnt vmcnt(0)
	v_mov_b32_dpp v0, v4 row_shr:1 row_mask:0xf bank_mask:0xf
	v_mov_b32_dpp v1, v5 row_shr:1 row_mask:0xf bank_mask:0xf
	v_add_f64 v[0:1], v[4:5], v[0:1]
	v_cndmask_b32_e32 v0, v0, v4, vcc
	v_cndmask_b32_e32 v1, v1, v5, vcc
	s_nop 0
	v_mov_b32_dpp v10, v0 row_shr:2 row_mask:0xf bank_mask:0xf
	v_mov_b32_dpp v11, v1 row_shr:2 row_mask:0xf bank_mask:0xf
	v_add_f64 v[10:11], v[0:1], v[10:11]
	v_cndmask_b32_e64 v0, v0, v10, s[0:1]
	v_cndmask_b32_e64 v1, v1, v11, s[0:1]
	s_nop 0
	v_mov_b32_dpp v10, v0 row_shr:4 row_mask:0xf bank_mask:0xf
	v_mov_b32_dpp v11, v1 row_shr:4 row_mask:0xf bank_mask:0xf
	v_add_f64 v[10:11], v[0:1], v[10:11]
	v_cndmask_b32_e64 v0, v0, v10, s[2:3]
	v_cndmask_b32_e64 v1, v1, v11, s[2:3]
	;; [unrolled: 6-line block ×3, first 2 shown]
	s_nop 0
	v_mov_b32_dpp v10, v0 row_bcast:15 row_mask:0xf bank_mask:0xf
	v_mov_b32_dpp v11, v1 row_bcast:15 row_mask:0xf bank_mask:0xf
	v_add_f64 v[10:11], v[0:1], v[10:11]
	v_cndmask_b32_e64 v0, v10, v0, s[6:7]
	v_cndmask_b32_e64 v1, v11, v1, s[6:7]
	s_nop 0
	v_mov_b32_dpp v10, v0 row_bcast:31 row_mask:0xf bank_mask:0xf
	v_mov_b32_dpp v11, v1 row_bcast:31 row_mask:0xf bank_mask:0xf
	v_add_f64 v[10:11], v[0:1], v[10:11]
	v_cndmask_b32_e64 v0, v0, v10, s[16:17]
	v_cndmask_b32_e64 v1, v1, v11, s[16:17]
	;; [unrolled: 1-line block ×4, first 2 shown]
	s_and_saveexec_b64 s[26:27], s[10:11]
	s_cbranch_execz .LBB198_4
; %bb.3:                                ;   in Loop: Header=BB198_2 Depth=1
	ds_write_b64 v7, v[0:1]
.LBB198_4:                              ;   in Loop: Header=BB198_2 Depth=1
	s_or_b64 exec, exec, s[26:27]
	s_waitcnt lgkmcnt(0)
	s_barrier
	s_and_saveexec_b64 s[26:27], s[12:13]
	s_cbranch_execz .LBB198_6
; %bb.5:                                ;   in Loop: Header=BB198_2 Depth=1
	ds_read_b64 v[4:5], v8
	s_waitcnt lgkmcnt(0)
	s_nop 0
	v_mov_b32_dpp v10, v4 row_shr:1 row_mask:0xf bank_mask:0xf
	v_mov_b32_dpp v11, v5 row_shr:1 row_mask:0xf bank_mask:0xf
	v_add_f64 v[10:11], v[4:5], v[10:11]
	v_cndmask_b32_e64 v5, v11, v5, s[18:19]
	v_cndmask_b32_e64 v4, v10, v4, s[18:19]
	s_nop 0
	v_mov_b32_dpp v11, v5 row_shr:2 row_mask:0xf bank_mask:0xf
	v_mov_b32_dpp v10, v4 row_shr:2 row_mask:0xf bank_mask:0xf
	v_add_f64 v[10:11], v[4:5], v[10:11]
	v_cndmask_b32_e64 v5, v5, v11, s[20:21]
	v_cndmask_b32_e64 v4, v4, v10, s[20:21]
	ds_write_b64 v8, v[4:5]
.LBB198_6:                              ;   in Loop: Header=BB198_2 Depth=1
	s_or_b64 exec, exec, s[26:27]
	v_mov_b64_e32 v[4:5], s[24:25]
	s_waitcnt lgkmcnt(0)
	s_barrier
	s_and_saveexec_b64 s[26:27], s[14:15]
	s_cbranch_execz .LBB198_1
; %bb.7:                                ;   in Loop: Header=BB198_2 Depth=1
	ds_read_b64 v[4:5], v9
	s_waitcnt lgkmcnt(0)
	v_add_f64 v[4:5], v[4:5], s[24:25]
	s_branch .LBB198_1
.LBB198_8:
	v_mov_b32_e32 v0, s22
	v_mov_b32_e32 v1, s23
	v_lshl_add_u64 v[0:1], v[2:3], 3, v[0:1]
	global_store_dwordx2 v[0:1], v[4:5], off
	s_endpgm
	.section	.rodata,"a",@progbits
	.p2align	6, 0x0
	.amdhsa_kernel _Z6kernelI14exclusive_scanILN6hipcub18BlockScanAlgorithmE0EEdLj256ELj1ELj100EEvPKT0_PS4_S4_
		.amdhsa_group_segment_fixed_size 32
		.amdhsa_private_segment_fixed_size 0
		.amdhsa_kernarg_size 280
		.amdhsa_user_sgpr_count 2
		.amdhsa_user_sgpr_dispatch_ptr 0
		.amdhsa_user_sgpr_queue_ptr 0
		.amdhsa_user_sgpr_kernarg_segment_ptr 1
		.amdhsa_user_sgpr_dispatch_id 0
		.amdhsa_user_sgpr_kernarg_preload_length 0
		.amdhsa_user_sgpr_kernarg_preload_offset 0
		.amdhsa_user_sgpr_private_segment_size 0
		.amdhsa_uses_dynamic_stack 0
		.amdhsa_enable_private_segment 0
		.amdhsa_system_sgpr_workgroup_id_x 1
		.amdhsa_system_sgpr_workgroup_id_y 0
		.amdhsa_system_sgpr_workgroup_id_z 0
		.amdhsa_system_sgpr_workgroup_info 0
		.amdhsa_system_vgpr_workitem_id 0
		.amdhsa_next_free_vgpr 12
		.amdhsa_next_free_sgpr 29
		.amdhsa_accum_offset 12
		.amdhsa_reserve_vcc 1
		.amdhsa_float_round_mode_32 0
		.amdhsa_float_round_mode_16_64 0
		.amdhsa_float_denorm_mode_32 3
		.amdhsa_float_denorm_mode_16_64 3
		.amdhsa_dx10_clamp 1
		.amdhsa_ieee_mode 1
		.amdhsa_fp16_overflow 0
		.amdhsa_tg_split 0
		.amdhsa_exception_fp_ieee_invalid_op 0
		.amdhsa_exception_fp_denorm_src 0
		.amdhsa_exception_fp_ieee_div_zero 0
		.amdhsa_exception_fp_ieee_overflow 0
		.amdhsa_exception_fp_ieee_underflow 0
		.amdhsa_exception_fp_ieee_inexact 0
		.amdhsa_exception_int_div_zero 0
	.end_amdhsa_kernel
	.section	.text._Z6kernelI14exclusive_scanILN6hipcub18BlockScanAlgorithmE0EEdLj256ELj1ELj100EEvPKT0_PS4_S4_,"axG",@progbits,_Z6kernelI14exclusive_scanILN6hipcub18BlockScanAlgorithmE0EEdLj256ELj1ELj100EEvPKT0_PS4_S4_,comdat
.Lfunc_end198:
	.size	_Z6kernelI14exclusive_scanILN6hipcub18BlockScanAlgorithmE0EEdLj256ELj1ELj100EEvPKT0_PS4_S4_, .Lfunc_end198-_Z6kernelI14exclusive_scanILN6hipcub18BlockScanAlgorithmE0EEdLj256ELj1ELj100EEvPKT0_PS4_S4_
                                        ; -- End function
	.section	.AMDGPU.csdata,"",@progbits
; Kernel info:
; codeLenInByte = 804
; NumSgprs: 35
; NumVgprs: 12
; NumAgprs: 0
; TotalNumVgprs: 12
; ScratchSize: 0
; MemoryBound: 0
; FloatMode: 240
; IeeeMode: 1
; LDSByteSize: 32 bytes/workgroup (compile time only)
; SGPRBlocks: 4
; VGPRBlocks: 1
; NumSGPRsForWavesPerEU: 35
; NumVGPRsForWavesPerEU: 12
; AccumOffset: 12
; Occupancy: 8
; WaveLimiterHint : 0
; COMPUTE_PGM_RSRC2:SCRATCH_EN: 0
; COMPUTE_PGM_RSRC2:USER_SGPR: 2
; COMPUTE_PGM_RSRC2:TRAP_HANDLER: 0
; COMPUTE_PGM_RSRC2:TGID_X_EN: 1
; COMPUTE_PGM_RSRC2:TGID_Y_EN: 0
; COMPUTE_PGM_RSRC2:TGID_Z_EN: 0
; COMPUTE_PGM_RSRC2:TIDIG_COMP_CNT: 0
; COMPUTE_PGM_RSRC3_GFX90A:ACCUM_OFFSET: 2
; COMPUTE_PGM_RSRC3_GFX90A:TG_SPLIT: 0
	.section	.text._Z6kernelI14exclusive_scanILN6hipcub18BlockScanAlgorithmE0EEdLj256ELj3ELj100EEvPKT0_PS4_S4_,"axG",@progbits,_Z6kernelI14exclusive_scanILN6hipcub18BlockScanAlgorithmE0EEdLj256ELj3ELj100EEvPKT0_PS4_S4_,comdat
	.protected	_Z6kernelI14exclusive_scanILN6hipcub18BlockScanAlgorithmE0EEdLj256ELj3ELj100EEvPKT0_PS4_S4_ ; -- Begin function _Z6kernelI14exclusive_scanILN6hipcub18BlockScanAlgorithmE0EEdLj256ELj3ELj100EEvPKT0_PS4_S4_
	.globl	_Z6kernelI14exclusive_scanILN6hipcub18BlockScanAlgorithmE0EEdLj256ELj3ELj100EEvPKT0_PS4_S4_
	.p2align	8
	.type	_Z6kernelI14exclusive_scanILN6hipcub18BlockScanAlgorithmE0EEdLj256ELj3ELj100EEvPKT0_PS4_S4_,@function
_Z6kernelI14exclusive_scanILN6hipcub18BlockScanAlgorithmE0EEdLj256ELj3ELj100EEvPKT0_PS4_S4_: ; @_Z6kernelI14exclusive_scanILN6hipcub18BlockScanAlgorithmE0EEdLj256ELj3ELj100EEvPKT0_PS4_S4_
; %bb.0:
	s_load_dword s3, s[0:1], 0x24
	s_load_dwordx4 s[24:27], s[0:1], 0x0
	s_load_dwordx2 s[28:29], s[0:1], 0x10
	v_mov_b32_e32 v3, 0
	v_mov_b32_e32 v5, v3
	s_waitcnt lgkmcnt(0)
	s_and_b32 s0, s3, 0xffff
	s_mul_i32 s2, s2, s0
	v_add_u32_e32 v1, s2, v0
	v_lshl_add_u32 v2, v1, 1, v1
	v_lshl_add_u64 v[14:15], v[2:3], 3, s[24:25]
	v_add_u32_e32 v4, 1, v2
	v_add_u32_e32 v6, 2, v2
	v_mov_b32_e32 v7, v3
	v_lshl_add_u64 v[16:17], v[4:5], 3, s[24:25]
	v_lshl_add_u64 v[18:19], v[6:7], 3, s[24:25]
	global_load_dwordx2 v[10:11], v[14:15], off
	global_load_dwordx2 v[8:9], v[16:17], off
	;; [unrolled: 1-line block ×3, first 2 shown]
	v_mbcnt_lo_u32_b32 v1, -1, 0
	v_mbcnt_hi_u32_b32 v1, -1, v1
	v_and_b32_e32 v14, 15, v1
	v_cmp_eq_u32_e32 vcc, 0, v14
	v_cmp_lt_u32_e64 s[0:1], 1, v14
	v_cmp_lt_u32_e64 s[2:3], 3, v14
	;; [unrolled: 1-line block ×3, first 2 shown]
	v_and_b32_e32 v14, 16, v1
	v_cmp_eq_u32_e64 s[6:7], 0, v14
	v_or_b32_e32 v14, 63, v0
	v_cmp_eq_u32_e64 s[10:11], v14, v0
	v_add_u32_e32 v14, -1, v1
	v_and_b32_e32 v15, 64, v1
	v_cmp_lt_i32_e64 s[16:17], v14, v15
	v_cmp_gt_u32_e64 s[12:13], 4, v0
	v_cmp_lt_u32_e64 s[14:15], 63, v0
	v_cndmask_b32_e64 v14, v14, v1, s[16:17]
	v_lshlrev_b32_e32 v16, 2, v14
	v_lshrrev_b32_e32 v14, 3, v0
	v_cmp_eq_u32_e64 s[16:17], 0, v0
	v_and_b32_e32 v17, 24, v14
	v_lshlrev_b32_e32 v18, 3, v0
	v_and_b32_e32 v0, 3, v1
	v_cmp_eq_u32_e64 s[8:9], 0, v1
	v_cmp_lt_u32_e64 s[18:19], 31, v1
	v_cmp_eq_u32_e64 s[20:21], 0, v0
	v_cmp_lt_u32_e64 s[22:23], 1, v0
	v_add_u32_e32 v19, -8, v17
	s_movk_i32 s30, 0x64
.LBB199_1:                              ; =>This Inner Loop Header: Depth=1
	s_waitcnt vmcnt(1)
	v_add_f64 v[0:1], v[10:11], v[8:9]
	s_waitcnt vmcnt(0)
	v_add_f64 v[0:1], v[12:13], v[0:1]
	s_nop 1
	v_mov_b32_dpp v12, v0 row_shr:1 row_mask:0xf bank_mask:0xf
	v_mov_b32_dpp v13, v1 row_shr:1 row_mask:0xf bank_mask:0xf
	v_add_f64 v[12:13], v[0:1], v[12:13]
	v_cndmask_b32_e32 v12, v12, v0, vcc
	v_cndmask_b32_e32 v13, v13, v1, vcc
	s_nop 0
	v_mov_b32_dpp v14, v12 row_shr:2 row_mask:0xf bank_mask:0xf
	v_mov_b32_dpp v15, v13 row_shr:2 row_mask:0xf bank_mask:0xf
	v_add_f64 v[14:15], v[12:13], v[14:15]
	v_cndmask_b32_e64 v12, v12, v14, s[0:1]
	v_cndmask_b32_e64 v13, v13, v15, s[0:1]
	s_nop 0
	v_mov_b32_dpp v14, v12 row_shr:4 row_mask:0xf bank_mask:0xf
	v_mov_b32_dpp v15, v13 row_shr:4 row_mask:0xf bank_mask:0xf
	v_add_f64 v[14:15], v[12:13], v[14:15]
	v_cndmask_b32_e64 v12, v12, v14, s[2:3]
	v_cndmask_b32_e64 v13, v13, v15, s[2:3]
	s_nop 0
	v_mov_b32_dpp v14, v12 row_shr:8 row_mask:0xf bank_mask:0xf
	v_mov_b32_dpp v15, v13 row_shr:8 row_mask:0xf bank_mask:0xf
	v_add_f64 v[14:15], v[12:13], v[14:15]
	v_cndmask_b32_e64 v12, v12, v14, s[4:5]
	v_cndmask_b32_e64 v13, v13, v15, s[4:5]
	s_nop 0
	v_mov_b32_dpp v14, v12 row_bcast:15 row_mask:0xf bank_mask:0xf
	v_mov_b32_dpp v15, v13 row_bcast:15 row_mask:0xf bank_mask:0xf
	v_add_f64 v[14:15], v[12:13], v[14:15]
	v_cndmask_b32_e64 v12, v14, v12, s[6:7]
	v_cndmask_b32_e64 v13, v15, v13, s[6:7]
	s_nop 0
	v_mov_b32_dpp v14, v12 row_bcast:31 row_mask:0xf bank_mask:0xf
	v_mov_b32_dpp v15, v13 row_bcast:31 row_mask:0xf bank_mask:0xf
	v_add_f64 v[14:15], v[12:13], v[14:15]
	v_cndmask_b32_e64 v12, v12, v14, s[18:19]
	v_cndmask_b32_e64 v13, v13, v15, s[18:19]
	;; [unrolled: 1-line block ×4, first 2 shown]
	s_and_saveexec_b64 s[24:25], s[10:11]
	s_cbranch_execz .LBB199_3
; %bb.2:                                ;   in Loop: Header=BB199_1 Depth=1
	ds_write_b64 v17, v[0:1]
.LBB199_3:                              ;   in Loop: Header=BB199_1 Depth=1
	s_or_b64 exec, exec, s[24:25]
	s_waitcnt lgkmcnt(0)
	s_barrier
	s_and_saveexec_b64 s[24:25], s[12:13]
	s_cbranch_execz .LBB199_5
; %bb.4:                                ;   in Loop: Header=BB199_1 Depth=1
	ds_read_b64 v[12:13], v18
	s_waitcnt lgkmcnt(0)
	s_nop 0
	v_mov_b32_dpp v14, v12 row_shr:1 row_mask:0xf bank_mask:0xf
	v_mov_b32_dpp v15, v13 row_shr:1 row_mask:0xf bank_mask:0xf
	v_add_f64 v[14:15], v[12:13], v[14:15]
	v_cndmask_b32_e64 v13, v15, v13, s[20:21]
	v_cndmask_b32_e64 v12, v14, v12, s[20:21]
	s_nop 0
	v_mov_b32_dpp v15, v13 row_shr:2 row_mask:0xf bank_mask:0xf
	v_mov_b32_dpp v14, v12 row_shr:2 row_mask:0xf bank_mask:0xf
	v_add_f64 v[14:15], v[12:13], v[14:15]
	v_cndmask_b32_e64 v13, v13, v15, s[22:23]
	v_cndmask_b32_e64 v12, v12, v14, s[22:23]
	ds_write_b64 v18, v[12:13]
.LBB199_5:                              ;   in Loop: Header=BB199_1 Depth=1
	s_or_b64 exec, exec, s[24:25]
	v_mov_b64_e32 v[12:13], s[28:29]
	s_waitcnt lgkmcnt(0)
	s_barrier
	s_and_saveexec_b64 s[24:25], s[14:15]
	s_cbranch_execz .LBB199_7
; %bb.6:                                ;   in Loop: Header=BB199_1 Depth=1
	ds_read_b64 v[12:13], v19
	s_waitcnt lgkmcnt(0)
	v_add_f64 v[12:13], v[12:13], s[28:29]
.LBB199_7:                              ;   in Loop: Header=BB199_1 Depth=1
	s_or_b64 exec, exec, s[24:25]
	v_add_f64 v[0:1], v[0:1], v[12:13]
	ds_bpermute_b32 v0, v16, v0
	ds_bpermute_b32 v1, v16, v1
	v_mov_b32_e32 v14, s29
	v_mov_b32_e32 v15, s28
	s_add_i32 s30, s30, -1
	s_waitcnt lgkmcnt(1)
	v_cndmask_b32_e64 v0, v0, v12, s[8:9]
	s_waitcnt lgkmcnt(0)
	v_cndmask_b32_e64 v1, v1, v13, s[8:9]
	v_cndmask_b32_e64 v1, v1, v14, s[16:17]
	v_cndmask_b32_e64 v0, v0, v15, s[16:17]
	v_add_f64 v[14:15], v[10:11], v[0:1]
	s_cmp_lg_u32 s30, 0
	v_add_f64 v[12:13], v[8:9], v[14:15]
	s_cbranch_scc0 .LBB199_9
; %bb.8:                                ;   in Loop: Header=BB199_1 Depth=1
	v_mov_b64_e32 v[10:11], v[0:1]
	v_mov_b64_e32 v[8:9], v[14:15]
	s_branch .LBB199_1
.LBB199_9:
	v_lshl_add_u64 v[2:3], v[2:3], 3, s[26:27]
	global_store_dwordx2 v[2:3], v[0:1], off
	v_lshl_add_u64 v[0:1], v[4:5], 3, s[26:27]
	global_store_dwordx2 v[0:1], v[14:15], off
	v_lshl_add_u64 v[0:1], v[6:7], 3, s[26:27]
	global_store_dwordx2 v[0:1], v[12:13], off
	s_endpgm
	.section	.rodata,"a",@progbits
	.p2align	6, 0x0
	.amdhsa_kernel _Z6kernelI14exclusive_scanILN6hipcub18BlockScanAlgorithmE0EEdLj256ELj3ELj100EEvPKT0_PS4_S4_
		.amdhsa_group_segment_fixed_size 32
		.amdhsa_private_segment_fixed_size 0
		.amdhsa_kernarg_size 280
		.amdhsa_user_sgpr_count 2
		.amdhsa_user_sgpr_dispatch_ptr 0
		.amdhsa_user_sgpr_queue_ptr 0
		.amdhsa_user_sgpr_kernarg_segment_ptr 1
		.amdhsa_user_sgpr_dispatch_id 0
		.amdhsa_user_sgpr_kernarg_preload_length 0
		.amdhsa_user_sgpr_kernarg_preload_offset 0
		.amdhsa_user_sgpr_private_segment_size 0
		.amdhsa_uses_dynamic_stack 0
		.amdhsa_enable_private_segment 0
		.amdhsa_system_sgpr_workgroup_id_x 1
		.amdhsa_system_sgpr_workgroup_id_y 0
		.amdhsa_system_sgpr_workgroup_id_z 0
		.amdhsa_system_sgpr_workgroup_info 0
		.amdhsa_system_vgpr_workitem_id 0
		.amdhsa_next_free_vgpr 20
		.amdhsa_next_free_sgpr 31
		.amdhsa_accum_offset 20
		.amdhsa_reserve_vcc 1
		.amdhsa_float_round_mode_32 0
		.amdhsa_float_round_mode_16_64 0
		.amdhsa_float_denorm_mode_32 3
		.amdhsa_float_denorm_mode_16_64 3
		.amdhsa_dx10_clamp 1
		.amdhsa_ieee_mode 1
		.amdhsa_fp16_overflow 0
		.amdhsa_tg_split 0
		.amdhsa_exception_fp_ieee_invalid_op 0
		.amdhsa_exception_fp_denorm_src 0
		.amdhsa_exception_fp_ieee_div_zero 0
		.amdhsa_exception_fp_ieee_overflow 0
		.amdhsa_exception_fp_ieee_underflow 0
		.amdhsa_exception_fp_ieee_inexact 0
		.amdhsa_exception_int_div_zero 0
	.end_amdhsa_kernel
	.section	.text._Z6kernelI14exclusive_scanILN6hipcub18BlockScanAlgorithmE0EEdLj256ELj3ELj100EEvPKT0_PS4_S4_,"axG",@progbits,_Z6kernelI14exclusive_scanILN6hipcub18BlockScanAlgorithmE0EEdLj256ELj3ELj100EEvPKT0_PS4_S4_,comdat
.Lfunc_end199:
	.size	_Z6kernelI14exclusive_scanILN6hipcub18BlockScanAlgorithmE0EEdLj256ELj3ELj100EEvPKT0_PS4_S4_, .Lfunc_end199-_Z6kernelI14exclusive_scanILN6hipcub18BlockScanAlgorithmE0EEdLj256ELj3ELj100EEvPKT0_PS4_S4_
                                        ; -- End function
	.section	.AMDGPU.csdata,"",@progbits
; Kernel info:
; codeLenInByte = 952
; NumSgprs: 37
; NumVgprs: 20
; NumAgprs: 0
; TotalNumVgprs: 20
; ScratchSize: 0
; MemoryBound: 0
; FloatMode: 240
; IeeeMode: 1
; LDSByteSize: 32 bytes/workgroup (compile time only)
; SGPRBlocks: 4
; VGPRBlocks: 2
; NumSGPRsForWavesPerEU: 37
; NumVGPRsForWavesPerEU: 20
; AccumOffset: 20
; Occupancy: 8
; WaveLimiterHint : 0
; COMPUTE_PGM_RSRC2:SCRATCH_EN: 0
; COMPUTE_PGM_RSRC2:USER_SGPR: 2
; COMPUTE_PGM_RSRC2:TRAP_HANDLER: 0
; COMPUTE_PGM_RSRC2:TGID_X_EN: 1
; COMPUTE_PGM_RSRC2:TGID_Y_EN: 0
; COMPUTE_PGM_RSRC2:TGID_Z_EN: 0
; COMPUTE_PGM_RSRC2:TIDIG_COMP_CNT: 0
; COMPUTE_PGM_RSRC3_GFX90A:ACCUM_OFFSET: 4
; COMPUTE_PGM_RSRC3_GFX90A:TG_SPLIT: 0
	.section	.text._Z6kernelI14exclusive_scanILN6hipcub18BlockScanAlgorithmE0EEdLj256ELj4ELj100EEvPKT0_PS4_S4_,"axG",@progbits,_Z6kernelI14exclusive_scanILN6hipcub18BlockScanAlgorithmE0EEdLj256ELj4ELj100EEvPKT0_PS4_S4_,comdat
	.protected	_Z6kernelI14exclusive_scanILN6hipcub18BlockScanAlgorithmE0EEdLj256ELj4ELj100EEvPKT0_PS4_S4_ ; -- Begin function _Z6kernelI14exclusive_scanILN6hipcub18BlockScanAlgorithmE0EEdLj256ELj4ELj100EEvPKT0_PS4_S4_
	.globl	_Z6kernelI14exclusive_scanILN6hipcub18BlockScanAlgorithmE0EEdLj256ELj4ELj100EEvPKT0_PS4_S4_
	.p2align	8
	.type	_Z6kernelI14exclusive_scanILN6hipcub18BlockScanAlgorithmE0EEdLj256ELj4ELj100EEvPKT0_PS4_S4_,@function
_Z6kernelI14exclusive_scanILN6hipcub18BlockScanAlgorithmE0EEdLj256ELj4ELj100EEvPKT0_PS4_S4_: ; @_Z6kernelI14exclusive_scanILN6hipcub18BlockScanAlgorithmE0EEdLj256ELj4ELj100EEvPKT0_PS4_S4_
; %bb.0:
	s_load_dwordx4 s[24:27], s[0:1], 0x0
	s_load_dword s3, s[0:1], 0x24
	s_load_dwordx2 s[28:29], s[0:1], 0x10
	v_mov_b32_e32 v15, 0
	v_mbcnt_lo_u32_b32 v1, -1, 0
	s_waitcnt lgkmcnt(0)
	v_mov_b32_e32 v2, s24
	s_and_b32 s0, s3, 0xffff
	s_mul_i32 s2, s2, s0
	v_mov_b32_e32 v3, s25
	v_add_lshl_u32 v14, s2, v0, 2
	v_lshl_add_u64 v[10:11], v[14:15], 3, v[2:3]
	global_load_dwordx4 v[2:5], v[10:11], off offset:16
	global_load_dwordx4 v[6:9], v[10:11], off
	v_mbcnt_hi_u32_b32 v1, -1, v1
	v_and_b32_e32 v10, 15, v1
	v_cmp_eq_u32_e32 vcc, 0, v10
	v_cmp_lt_u32_e64 s[0:1], 1, v10
	v_cmp_lt_u32_e64 s[2:3], 3, v10
	;; [unrolled: 1-line block ×3, first 2 shown]
	v_and_b32_e32 v10, 16, v1
	v_cmp_eq_u32_e64 s[6:7], 0, v10
	v_or_b32_e32 v10, 63, v0
	v_cmp_eq_u32_e64 s[10:11], v10, v0
	v_add_u32_e32 v10, -1, v1
	v_and_b32_e32 v11, 64, v1
	v_cmp_lt_i32_e64 s[16:17], v10, v11
	v_cmp_gt_u32_e64 s[12:13], 4, v0
	v_cmp_lt_u32_e64 s[14:15], 63, v0
	v_cndmask_b32_e64 v10, v10, v1, s[16:17]
	v_lshlrev_b32_e32 v16, 2, v10
	v_lshrrev_b32_e32 v10, 3, v0
	v_cmp_eq_u32_e64 s[16:17], 0, v0
	v_and_b32_e32 v17, 24, v10
	v_lshlrev_b32_e32 v18, 3, v0
	v_and_b32_e32 v0, 3, v1
	v_cmp_eq_u32_e64 s[8:9], 0, v1
	v_cmp_lt_u32_e64 s[18:19], 31, v1
	v_cmp_eq_u32_e64 s[20:21], 0, v0
	v_cmp_lt_u32_e64 s[22:23], 1, v0
	v_add_u32_e32 v19, -8, v17
	s_movk_i32 s30, 0x64
.LBB200_1:                              ; =>This Inner Loop Header: Depth=1
	s_waitcnt vmcnt(0)
	v_add_f64 v[0:1], v[6:7], v[8:9]
	v_add_f64 v[0:1], v[2:3], v[0:1]
	;; [unrolled: 1-line block ×3, first 2 shown]
	s_nop 1
	v_mov_b32_dpp v4, v0 row_shr:1 row_mask:0xf bank_mask:0xf
	v_mov_b32_dpp v5, v1 row_shr:1 row_mask:0xf bank_mask:0xf
	v_add_f64 v[4:5], v[0:1], v[4:5]
	v_cndmask_b32_e32 v4, v4, v0, vcc
	v_cndmask_b32_e32 v5, v5, v1, vcc
	s_nop 0
	v_mov_b32_dpp v10, v4 row_shr:2 row_mask:0xf bank_mask:0xf
	v_mov_b32_dpp v11, v5 row_shr:2 row_mask:0xf bank_mask:0xf
	v_add_f64 v[10:11], v[4:5], v[10:11]
	v_cndmask_b32_e64 v4, v4, v10, s[0:1]
	v_cndmask_b32_e64 v5, v5, v11, s[0:1]
	s_nop 0
	v_mov_b32_dpp v10, v4 row_shr:4 row_mask:0xf bank_mask:0xf
	v_mov_b32_dpp v11, v5 row_shr:4 row_mask:0xf bank_mask:0xf
	v_add_f64 v[10:11], v[4:5], v[10:11]
	v_cndmask_b32_e64 v4, v4, v10, s[2:3]
	v_cndmask_b32_e64 v5, v5, v11, s[2:3]
	;; [unrolled: 6-line block ×3, first 2 shown]
	s_nop 0
	v_mov_b32_dpp v10, v4 row_bcast:15 row_mask:0xf bank_mask:0xf
	v_mov_b32_dpp v11, v5 row_bcast:15 row_mask:0xf bank_mask:0xf
	v_add_f64 v[10:11], v[4:5], v[10:11]
	v_cndmask_b32_e64 v4, v10, v4, s[6:7]
	v_cndmask_b32_e64 v5, v11, v5, s[6:7]
	s_nop 0
	v_mov_b32_dpp v10, v4 row_bcast:31 row_mask:0xf bank_mask:0xf
	v_mov_b32_dpp v11, v5 row_bcast:31 row_mask:0xf bank_mask:0xf
	v_add_f64 v[10:11], v[4:5], v[10:11]
	v_cndmask_b32_e64 v4, v4, v10, s[18:19]
	v_cndmask_b32_e64 v5, v5, v11, s[18:19]
	;; [unrolled: 1-line block ×4, first 2 shown]
	s_and_saveexec_b64 s[24:25], s[10:11]
	s_cbranch_execz .LBB200_3
; %bb.2:                                ;   in Loop: Header=BB200_1 Depth=1
	ds_write_b64 v17, v[0:1]
.LBB200_3:                              ;   in Loop: Header=BB200_1 Depth=1
	s_or_b64 exec, exec, s[24:25]
	s_waitcnt lgkmcnt(0)
	s_barrier
	s_and_saveexec_b64 s[24:25], s[12:13]
	s_cbranch_execz .LBB200_5
; %bb.4:                                ;   in Loop: Header=BB200_1 Depth=1
	ds_read_b64 v[4:5], v18
	s_waitcnt lgkmcnt(0)
	s_nop 0
	v_mov_b32_dpp v10, v4 row_shr:1 row_mask:0xf bank_mask:0xf
	v_mov_b32_dpp v11, v5 row_shr:1 row_mask:0xf bank_mask:0xf
	v_add_f64 v[10:11], v[4:5], v[10:11]
	v_cndmask_b32_e64 v5, v11, v5, s[20:21]
	v_cndmask_b32_e64 v4, v10, v4, s[20:21]
	s_nop 0
	v_mov_b32_dpp v11, v5 row_shr:2 row_mask:0xf bank_mask:0xf
	v_mov_b32_dpp v10, v4 row_shr:2 row_mask:0xf bank_mask:0xf
	v_add_f64 v[10:11], v[4:5], v[10:11]
	v_cndmask_b32_e64 v5, v5, v11, s[22:23]
	v_cndmask_b32_e64 v4, v4, v10, s[22:23]
	ds_write_b64 v18, v[4:5]
.LBB200_5:                              ;   in Loop: Header=BB200_1 Depth=1
	s_or_b64 exec, exec, s[24:25]
	v_mov_b64_e32 v[4:5], s[28:29]
	s_waitcnt lgkmcnt(0)
	s_barrier
	s_and_saveexec_b64 s[24:25], s[14:15]
	s_cbranch_execz .LBB200_7
; %bb.6:                                ;   in Loop: Header=BB200_1 Depth=1
	ds_read_b64 v[4:5], v19
	s_waitcnt lgkmcnt(0)
	v_add_f64 v[4:5], v[4:5], s[28:29]
.LBB200_7:                              ;   in Loop: Header=BB200_1 Depth=1
	s_or_b64 exec, exec, s[24:25]
	v_add_f64 v[0:1], v[0:1], v[4:5]
	ds_bpermute_b32 v0, v16, v0
	ds_bpermute_b32 v1, v16, v1
	v_mov_b32_e32 v10, s29
	v_mov_b32_e32 v12, s28
	s_add_i32 s30, s30, -1
	s_waitcnt lgkmcnt(1)
	v_cndmask_b32_e64 v0, v0, v4, s[8:9]
	s_waitcnt lgkmcnt(0)
	v_cndmask_b32_e64 v1, v1, v5, s[8:9]
	v_cndmask_b32_e64 v11, v1, v10, s[16:17]
	;; [unrolled: 1-line block ×3, first 2 shown]
	v_add_f64 v[12:13], v[6:7], v[10:11]
	v_add_f64 v[0:1], v[8:9], v[12:13]
	s_cmp_lg_u32 s30, 0
	v_add_f64 v[4:5], v[2:3], v[0:1]
	s_cbranch_scc0 .LBB200_9
; %bb.8:                                ;   in Loop: Header=BB200_1 Depth=1
	v_mov_b64_e32 v[6:7], v[10:11]
	v_mov_b64_e32 v[8:9], v[12:13]
	;; [unrolled: 1-line block ×3, first 2 shown]
	s_branch .LBB200_1
.LBB200_9:
	v_mov_b32_e32 v2, s26
	v_mov_b32_e32 v3, s27
	v_lshl_add_u64 v[6:7], v[14:15], 3, v[2:3]
	v_mov_b32_e32 v2, v4
	v_mov_b32_e32 v3, v5
	global_store_dwordx4 v[6:7], v[10:13], off
	global_store_dwordx4 v[6:7], v[0:3], off offset:16
	s_endpgm
	.section	.rodata,"a",@progbits
	.p2align	6, 0x0
	.amdhsa_kernel _Z6kernelI14exclusive_scanILN6hipcub18BlockScanAlgorithmE0EEdLj256ELj4ELj100EEvPKT0_PS4_S4_
		.amdhsa_group_segment_fixed_size 32
		.amdhsa_private_segment_fixed_size 0
		.amdhsa_kernarg_size 280
		.amdhsa_user_sgpr_count 2
		.amdhsa_user_sgpr_dispatch_ptr 0
		.amdhsa_user_sgpr_queue_ptr 0
		.amdhsa_user_sgpr_kernarg_segment_ptr 1
		.amdhsa_user_sgpr_dispatch_id 0
		.amdhsa_user_sgpr_kernarg_preload_length 0
		.amdhsa_user_sgpr_kernarg_preload_offset 0
		.amdhsa_user_sgpr_private_segment_size 0
		.amdhsa_uses_dynamic_stack 0
		.amdhsa_enable_private_segment 0
		.amdhsa_system_sgpr_workgroup_id_x 1
		.amdhsa_system_sgpr_workgroup_id_y 0
		.amdhsa_system_sgpr_workgroup_id_z 0
		.amdhsa_system_sgpr_workgroup_info 0
		.amdhsa_system_vgpr_workitem_id 0
		.amdhsa_next_free_vgpr 20
		.amdhsa_next_free_sgpr 31
		.amdhsa_accum_offset 20
		.amdhsa_reserve_vcc 1
		.amdhsa_float_round_mode_32 0
		.amdhsa_float_round_mode_16_64 0
		.amdhsa_float_denorm_mode_32 3
		.amdhsa_float_denorm_mode_16_64 3
		.amdhsa_dx10_clamp 1
		.amdhsa_ieee_mode 1
		.amdhsa_fp16_overflow 0
		.amdhsa_tg_split 0
		.amdhsa_exception_fp_ieee_invalid_op 0
		.amdhsa_exception_fp_denorm_src 0
		.amdhsa_exception_fp_ieee_div_zero 0
		.amdhsa_exception_fp_ieee_overflow 0
		.amdhsa_exception_fp_ieee_underflow 0
		.amdhsa_exception_fp_ieee_inexact 0
		.amdhsa_exception_int_div_zero 0
	.end_amdhsa_kernel
	.section	.text._Z6kernelI14exclusive_scanILN6hipcub18BlockScanAlgorithmE0EEdLj256ELj4ELj100EEvPKT0_PS4_S4_,"axG",@progbits,_Z6kernelI14exclusive_scanILN6hipcub18BlockScanAlgorithmE0EEdLj256ELj4ELj100EEvPKT0_PS4_S4_,comdat
.Lfunc_end200:
	.size	_Z6kernelI14exclusive_scanILN6hipcub18BlockScanAlgorithmE0EEdLj256ELj4ELj100EEvPKT0_PS4_S4_, .Lfunc_end200-_Z6kernelI14exclusive_scanILN6hipcub18BlockScanAlgorithmE0EEdLj256ELj4ELj100EEvPKT0_PS4_S4_
                                        ; -- End function
	.section	.AMDGPU.csdata,"",@progbits
; Kernel info:
; codeLenInByte = 924
; NumSgprs: 37
; NumVgprs: 20
; NumAgprs: 0
; TotalNumVgprs: 20
; ScratchSize: 0
; MemoryBound: 0
; FloatMode: 240
; IeeeMode: 1
; LDSByteSize: 32 bytes/workgroup (compile time only)
; SGPRBlocks: 4
; VGPRBlocks: 2
; NumSGPRsForWavesPerEU: 37
; NumVGPRsForWavesPerEU: 20
; AccumOffset: 20
; Occupancy: 8
; WaveLimiterHint : 0
; COMPUTE_PGM_RSRC2:SCRATCH_EN: 0
; COMPUTE_PGM_RSRC2:USER_SGPR: 2
; COMPUTE_PGM_RSRC2:TRAP_HANDLER: 0
; COMPUTE_PGM_RSRC2:TGID_X_EN: 1
; COMPUTE_PGM_RSRC2:TGID_Y_EN: 0
; COMPUTE_PGM_RSRC2:TGID_Z_EN: 0
; COMPUTE_PGM_RSRC2:TIDIG_COMP_CNT: 0
; COMPUTE_PGM_RSRC3_GFX90A:ACCUM_OFFSET: 4
; COMPUTE_PGM_RSRC3_GFX90A:TG_SPLIT: 0
	.section	.text._Z6kernelI14exclusive_scanILN6hipcub18BlockScanAlgorithmE0EEdLj256ELj8ELj100EEvPKT0_PS4_S4_,"axG",@progbits,_Z6kernelI14exclusive_scanILN6hipcub18BlockScanAlgorithmE0EEdLj256ELj8ELj100EEvPKT0_PS4_S4_,comdat
	.protected	_Z6kernelI14exclusive_scanILN6hipcub18BlockScanAlgorithmE0EEdLj256ELj8ELj100EEvPKT0_PS4_S4_ ; -- Begin function _Z6kernelI14exclusive_scanILN6hipcub18BlockScanAlgorithmE0EEdLj256ELj8ELj100EEvPKT0_PS4_S4_
	.globl	_Z6kernelI14exclusive_scanILN6hipcub18BlockScanAlgorithmE0EEdLj256ELj8ELj100EEvPKT0_PS4_S4_
	.p2align	8
	.type	_Z6kernelI14exclusive_scanILN6hipcub18BlockScanAlgorithmE0EEdLj256ELj8ELj100EEvPKT0_PS4_S4_,@function
_Z6kernelI14exclusive_scanILN6hipcub18BlockScanAlgorithmE0EEdLj256ELj8ELj100EEvPKT0_PS4_S4_: ; @_Z6kernelI14exclusive_scanILN6hipcub18BlockScanAlgorithmE0EEdLj256ELj8ELj100EEvPKT0_PS4_S4_
; %bb.0:
	s_load_dwordx4 s[24:27], s[0:1], 0x0
	s_load_dword s3, s[0:1], 0x24
	s_load_dwordx2 s[28:29], s[0:1], 0x10
	v_mov_b32_e32 v23, 0
	v_mbcnt_lo_u32_b32 v1, -1, 0
	s_waitcnt lgkmcnt(0)
	v_mov_b32_e32 v2, s24
	s_and_b32 s0, s3, 0xffff
	s_mul_i32 s2, s2, s0
	v_mov_b32_e32 v3, s25
	v_add_lshl_u32 v22, s2, v0, 3
	v_lshl_add_u64 v[18:19], v[22:23], 3, v[2:3]
	global_load_dwordx4 v[2:5], v[18:19], off offset:48
	global_load_dwordx4 v[6:9], v[18:19], off offset:32
	;; [unrolled: 1-line block ×3, first 2 shown]
	global_load_dwordx4 v[14:17], v[18:19], off
	v_mbcnt_hi_u32_b32 v1, -1, v1
	v_and_b32_e32 v18, 15, v1
	v_cmp_eq_u32_e32 vcc, 0, v18
	v_cmp_lt_u32_e64 s[0:1], 1, v18
	v_cmp_lt_u32_e64 s[2:3], 3, v18
	;; [unrolled: 1-line block ×3, first 2 shown]
	v_and_b32_e32 v18, 16, v1
	v_cmp_eq_u32_e64 s[6:7], 0, v18
	v_or_b32_e32 v18, 63, v0
	v_cmp_eq_u32_e64 s[10:11], v18, v0
	v_add_u32_e32 v18, -1, v1
	v_and_b32_e32 v19, 64, v1
	v_cmp_lt_i32_e64 s[16:17], v18, v19
	v_cmp_gt_u32_e64 s[12:13], 4, v0
	v_cmp_lt_u32_e64 s[14:15], 63, v0
	v_cndmask_b32_e64 v18, v18, v1, s[16:17]
	v_lshlrev_b32_e32 v24, 2, v18
	v_lshrrev_b32_e32 v18, 3, v0
	v_cmp_eq_u32_e64 s[16:17], 0, v0
	v_and_b32_e32 v25, 24, v18
	v_lshlrev_b32_e32 v26, 3, v0
	v_and_b32_e32 v0, 3, v1
	v_cmp_eq_u32_e64 s[8:9], 0, v1
	v_cmp_lt_u32_e64 s[18:19], 31, v1
	v_cmp_eq_u32_e64 s[20:21], 0, v0
	v_cmp_lt_u32_e64 s[22:23], 1, v0
	v_add_u32_e32 v27, -8, v25
	s_movk_i32 s30, 0x64
.LBB201_1:                              ; =>This Inner Loop Header: Depth=1
	s_waitcnt vmcnt(0)
	v_add_f64 v[0:1], v[16:17], v[14:15]
	v_add_f64 v[0:1], v[10:11], v[0:1]
	;; [unrolled: 1-line block ×7, first 2 shown]
	s_nop 1
	v_mov_b32_dpp v4, v0 row_shr:1 row_mask:0xf bank_mask:0xf
	v_mov_b32_dpp v5, v1 row_shr:1 row_mask:0xf bank_mask:0xf
	v_add_f64 v[4:5], v[0:1], v[4:5]
	v_cndmask_b32_e32 v4, v4, v0, vcc
	v_cndmask_b32_e32 v5, v5, v1, vcc
	s_nop 0
	v_mov_b32_dpp v18, v4 row_shr:2 row_mask:0xf bank_mask:0xf
	v_mov_b32_dpp v19, v5 row_shr:2 row_mask:0xf bank_mask:0xf
	v_add_f64 v[18:19], v[4:5], v[18:19]
	v_cndmask_b32_e64 v4, v4, v18, s[0:1]
	v_cndmask_b32_e64 v5, v5, v19, s[0:1]
	s_nop 0
	v_mov_b32_dpp v18, v4 row_shr:4 row_mask:0xf bank_mask:0xf
	v_mov_b32_dpp v19, v5 row_shr:4 row_mask:0xf bank_mask:0xf
	v_add_f64 v[18:19], v[4:5], v[18:19]
	v_cndmask_b32_e64 v4, v4, v18, s[2:3]
	v_cndmask_b32_e64 v5, v5, v19, s[2:3]
	s_nop 0
	v_mov_b32_dpp v18, v4 row_shr:8 row_mask:0xf bank_mask:0xf
	v_mov_b32_dpp v19, v5 row_shr:8 row_mask:0xf bank_mask:0xf
	v_add_f64 v[18:19], v[4:5], v[18:19]
	v_cndmask_b32_e64 v4, v4, v18, s[4:5]
	v_cndmask_b32_e64 v5, v5, v19, s[4:5]
	s_nop 0
	v_mov_b32_dpp v18, v4 row_bcast:15 row_mask:0xf bank_mask:0xf
	v_mov_b32_dpp v19, v5 row_bcast:15 row_mask:0xf bank_mask:0xf
	v_add_f64 v[18:19], v[4:5], v[18:19]
	v_cndmask_b32_e64 v4, v18, v4, s[6:7]
	v_cndmask_b32_e64 v5, v19, v5, s[6:7]
	s_nop 0
	v_mov_b32_dpp v18, v4 row_bcast:31 row_mask:0xf bank_mask:0xf
	v_mov_b32_dpp v19, v5 row_bcast:31 row_mask:0xf bank_mask:0xf
	v_add_f64 v[18:19], v[4:5], v[18:19]
	v_cndmask_b32_e64 v4, v4, v18, s[18:19]
	v_cndmask_b32_e64 v5, v5, v19, s[18:19]
	;; [unrolled: 1-line block ×4, first 2 shown]
	s_and_saveexec_b64 s[24:25], s[10:11]
	s_cbranch_execz .LBB201_3
; %bb.2:                                ;   in Loop: Header=BB201_1 Depth=1
	ds_write_b64 v25, v[0:1]
.LBB201_3:                              ;   in Loop: Header=BB201_1 Depth=1
	s_or_b64 exec, exec, s[24:25]
	s_waitcnt lgkmcnt(0)
	s_barrier
	s_and_saveexec_b64 s[24:25], s[12:13]
	s_cbranch_execz .LBB201_5
; %bb.4:                                ;   in Loop: Header=BB201_1 Depth=1
	ds_read_b64 v[4:5], v26
	s_waitcnt lgkmcnt(0)
	s_nop 0
	v_mov_b32_dpp v18, v4 row_shr:1 row_mask:0xf bank_mask:0xf
	v_mov_b32_dpp v19, v5 row_shr:1 row_mask:0xf bank_mask:0xf
	v_add_f64 v[18:19], v[4:5], v[18:19]
	v_cndmask_b32_e64 v5, v19, v5, s[20:21]
	v_cndmask_b32_e64 v4, v18, v4, s[20:21]
	s_nop 0
	v_mov_b32_dpp v19, v5 row_shr:2 row_mask:0xf bank_mask:0xf
	v_mov_b32_dpp v18, v4 row_shr:2 row_mask:0xf bank_mask:0xf
	v_add_f64 v[18:19], v[4:5], v[18:19]
	v_cndmask_b32_e64 v5, v5, v19, s[22:23]
	v_cndmask_b32_e64 v4, v4, v18, s[22:23]
	ds_write_b64 v26, v[4:5]
.LBB201_5:                              ;   in Loop: Header=BB201_1 Depth=1
	s_or_b64 exec, exec, s[24:25]
	v_mov_b64_e32 v[4:5], s[28:29]
	s_waitcnt lgkmcnt(0)
	s_barrier
	s_and_saveexec_b64 s[24:25], s[14:15]
	s_cbranch_execz .LBB201_7
; %bb.6:                                ;   in Loop: Header=BB201_1 Depth=1
	ds_read_b64 v[4:5], v27
	s_waitcnt lgkmcnt(0)
	v_add_f64 v[4:5], v[4:5], s[28:29]
.LBB201_7:                              ;   in Loop: Header=BB201_1 Depth=1
	s_or_b64 exec, exec, s[24:25]
	v_add_f64 v[0:1], v[0:1], v[4:5]
	ds_bpermute_b32 v0, v24, v0
	ds_bpermute_b32 v1, v24, v1
	v_mov_b32_e32 v18, s29
	v_mov_b32_e32 v20, s28
	s_add_i32 s30, s30, -1
	s_waitcnt lgkmcnt(1)
	v_cndmask_b32_e64 v0, v0, v4, s[8:9]
	s_waitcnt lgkmcnt(0)
	v_cndmask_b32_e64 v1, v1, v5, s[8:9]
	v_cndmask_b32_e64 v19, v1, v18, s[16:17]
	;; [unrolled: 1-line block ×3, first 2 shown]
	v_add_f64 v[20:21], v[14:15], v[18:19]
	v_add_f64 v[14:15], v[16:17], v[20:21]
	;; [unrolled: 1-line block ×6, first 2 shown]
	s_cmp_lg_u32 s30, 0
	v_add_f64 v[4:5], v[2:3], v[0:1]
	s_cbranch_scc0 .LBB201_9
; %bb.8:                                ;   in Loop: Header=BB201_1 Depth=1
	v_mov_b64_e32 v[2:3], v[0:1]
	v_mov_b64_e32 v[8:9], v[12:13]
	;; [unrolled: 1-line block ×7, first 2 shown]
	s_branch .LBB201_1
.LBB201_9:
	v_mov_b32_e32 v2, s26
	v_mov_b32_e32 v3, s27
	v_lshl_add_u64 v[6:7], v[22:23], 3, v[2:3]
	v_mov_b32_e32 v2, v4
	v_mov_b32_e32 v3, v5
	global_store_dwordx4 v[6:7], v[18:21], off
	global_store_dwordx4 v[6:7], v[14:17], off offset:16
	global_store_dwordx4 v[6:7], v[10:13], off offset:32
	;; [unrolled: 1-line block ×3, first 2 shown]
	s_endpgm
	.section	.rodata,"a",@progbits
	.p2align	6, 0x0
	.amdhsa_kernel _Z6kernelI14exclusive_scanILN6hipcub18BlockScanAlgorithmE0EEdLj256ELj8ELj100EEvPKT0_PS4_S4_
		.amdhsa_group_segment_fixed_size 32
		.amdhsa_private_segment_fixed_size 0
		.amdhsa_kernarg_size 280
		.amdhsa_user_sgpr_count 2
		.amdhsa_user_sgpr_dispatch_ptr 0
		.amdhsa_user_sgpr_queue_ptr 0
		.amdhsa_user_sgpr_kernarg_segment_ptr 1
		.amdhsa_user_sgpr_dispatch_id 0
		.amdhsa_user_sgpr_kernarg_preload_length 0
		.amdhsa_user_sgpr_kernarg_preload_offset 0
		.amdhsa_user_sgpr_private_segment_size 0
		.amdhsa_uses_dynamic_stack 0
		.amdhsa_enable_private_segment 0
		.amdhsa_system_sgpr_workgroup_id_x 1
		.amdhsa_system_sgpr_workgroup_id_y 0
		.amdhsa_system_sgpr_workgroup_id_z 0
		.amdhsa_system_sgpr_workgroup_info 0
		.amdhsa_system_vgpr_workitem_id 0
		.amdhsa_next_free_vgpr 28
		.amdhsa_next_free_sgpr 31
		.amdhsa_accum_offset 28
		.amdhsa_reserve_vcc 1
		.amdhsa_float_round_mode_32 0
		.amdhsa_float_round_mode_16_64 0
		.amdhsa_float_denorm_mode_32 3
		.amdhsa_float_denorm_mode_16_64 3
		.amdhsa_dx10_clamp 1
		.amdhsa_ieee_mode 1
		.amdhsa_fp16_overflow 0
		.amdhsa_tg_split 0
		.amdhsa_exception_fp_ieee_invalid_op 0
		.amdhsa_exception_fp_denorm_src 0
		.amdhsa_exception_fp_ieee_div_zero 0
		.amdhsa_exception_fp_ieee_overflow 0
		.amdhsa_exception_fp_ieee_underflow 0
		.amdhsa_exception_fp_ieee_inexact 0
		.amdhsa_exception_int_div_zero 0
	.end_amdhsa_kernel
	.section	.text._Z6kernelI14exclusive_scanILN6hipcub18BlockScanAlgorithmE0EEdLj256ELj8ELj100EEvPKT0_PS4_S4_,"axG",@progbits,_Z6kernelI14exclusive_scanILN6hipcub18BlockScanAlgorithmE0EEdLj256ELj8ELj100EEvPKT0_PS4_S4_,comdat
.Lfunc_end201:
	.size	_Z6kernelI14exclusive_scanILN6hipcub18BlockScanAlgorithmE0EEdLj256ELj8ELj100EEvPKT0_PS4_S4_, .Lfunc_end201-_Z6kernelI14exclusive_scanILN6hipcub18BlockScanAlgorithmE0EEdLj256ELj8ELj100EEvPKT0_PS4_S4_
                                        ; -- End function
	.section	.AMDGPU.csdata,"",@progbits
; Kernel info:
; codeLenInByte = 1036
; NumSgprs: 37
; NumVgprs: 28
; NumAgprs: 0
; TotalNumVgprs: 28
; ScratchSize: 0
; MemoryBound: 0
; FloatMode: 240
; IeeeMode: 1
; LDSByteSize: 32 bytes/workgroup (compile time only)
; SGPRBlocks: 4
; VGPRBlocks: 3
; NumSGPRsForWavesPerEU: 37
; NumVGPRsForWavesPerEU: 28
; AccumOffset: 28
; Occupancy: 8
; WaveLimiterHint : 0
; COMPUTE_PGM_RSRC2:SCRATCH_EN: 0
; COMPUTE_PGM_RSRC2:USER_SGPR: 2
; COMPUTE_PGM_RSRC2:TRAP_HANDLER: 0
; COMPUTE_PGM_RSRC2:TGID_X_EN: 1
; COMPUTE_PGM_RSRC2:TGID_Y_EN: 0
; COMPUTE_PGM_RSRC2:TGID_Z_EN: 0
; COMPUTE_PGM_RSRC2:TIDIG_COMP_CNT: 0
; COMPUTE_PGM_RSRC3_GFX90A:ACCUM_OFFSET: 6
; COMPUTE_PGM_RSRC3_GFX90A:TG_SPLIT: 0
	.section	.text._Z6kernelI14exclusive_scanILN6hipcub18BlockScanAlgorithmE0EEdLj256ELj11ELj100EEvPKT0_PS4_S4_,"axG",@progbits,_Z6kernelI14exclusive_scanILN6hipcub18BlockScanAlgorithmE0EEdLj256ELj11ELj100EEvPKT0_PS4_S4_,comdat
	.protected	_Z6kernelI14exclusive_scanILN6hipcub18BlockScanAlgorithmE0EEdLj256ELj11ELj100EEvPKT0_PS4_S4_ ; -- Begin function _Z6kernelI14exclusive_scanILN6hipcub18BlockScanAlgorithmE0EEdLj256ELj11ELj100EEvPKT0_PS4_S4_
	.globl	_Z6kernelI14exclusive_scanILN6hipcub18BlockScanAlgorithmE0EEdLj256ELj11ELj100EEvPKT0_PS4_S4_
	.p2align	8
	.type	_Z6kernelI14exclusive_scanILN6hipcub18BlockScanAlgorithmE0EEdLj256ELj11ELj100EEvPKT0_PS4_S4_,@function
_Z6kernelI14exclusive_scanILN6hipcub18BlockScanAlgorithmE0EEdLj256ELj11ELj100EEvPKT0_PS4_S4_: ; @_Z6kernelI14exclusive_scanILN6hipcub18BlockScanAlgorithmE0EEdLj256ELj11ELj100EEvPKT0_PS4_S4_
; %bb.0:
	s_load_dword s3, s[0:1], 0x24
	s_load_dwordx4 s[24:27], s[0:1], 0x0
	s_load_dwordx2 s[28:29], s[0:1], 0x10
	v_mov_b32_e32 v3, 0
	v_mov_b32_e32 v5, v3
	s_waitcnt lgkmcnt(0)
	s_and_b32 s0, s3, 0xffff
	s_mul_i32 s2, s2, s0
	v_add_u32_e32 v1, s2, v0
	v_mul_lo_u32 v2, v1, 11
	v_lshl_add_u64 v[10:11], v[2:3], 3, s[24:25]
	v_add_u32_e32 v4, 1, v2
	v_add_u32_e32 v6, 2, v2
	v_mov_b32_e32 v7, v3
	v_add_u32_e32 v8, 3, v2
	v_mov_b32_e32 v9, v3
	v_lshl_add_u64 v[12:13], v[4:5], 3, s[24:25]
	v_lshl_add_u64 v[14:15], v[6:7], 3, s[24:25]
	;; [unrolled: 1-line block ×3, first 2 shown]
	global_load_dwordx2 v[30:31], v[10:11], off
	global_load_dwordx2 v[28:29], v[12:13], off
	;; [unrolled: 1-line block ×4, first 2 shown]
	v_add_u32_e32 v10, 4, v2
	v_mov_b32_e32 v11, v3
	v_lshl_add_u64 v[18:19], v[10:11], 3, s[24:25]
	v_add_u32_e32 v12, 5, v2
	v_mov_b32_e32 v13, v3
	v_add_u32_e32 v14, 6, v2
	v_mov_b32_e32 v15, v3
	;; [unrolled: 2-line block ×3, first 2 shown]
	v_lshl_add_u64 v[20:21], v[12:13], 3, s[24:25]
	v_lshl_add_u64 v[22:23], v[14:15], 3, s[24:25]
	;; [unrolled: 1-line block ×3, first 2 shown]
	global_load_dwordx2 v[38:39], v[18:19], off
	global_load_dwordx2 v[36:37], v[20:21], off
	global_load_dwordx2 v[34:35], v[22:23], off
	global_load_dwordx2 v[32:33], v[40:41], off
	v_add_u32_e32 v18, 8, v2
	v_mov_b32_e32 v19, v3
	v_lshl_add_u64 v[46:47], v[18:19], 3, s[24:25]
	v_add_u32_e32 v20, 9, v2
	v_mov_b32_e32 v21, v3
	v_add_u32_e32 v22, 10, v2
	v_mov_b32_e32 v23, v3
	v_lshl_add_u64 v[48:49], v[20:21], 3, s[24:25]
	v_lshl_add_u64 v[50:51], v[22:23], 3, s[24:25]
	global_load_dwordx2 v[42:43], v[46:47], off
	global_load_dwordx2 v[40:41], v[48:49], off
	;; [unrolled: 1-line block ×3, first 2 shown]
	v_mbcnt_lo_u32_b32 v1, -1, 0
	v_mbcnt_hi_u32_b32 v1, -1, v1
	v_and_b32_e32 v46, 15, v1
	v_cmp_eq_u32_e32 vcc, 0, v46
	v_cmp_lt_u32_e64 s[0:1], 1, v46
	v_cmp_lt_u32_e64 s[2:3], 3, v46
	;; [unrolled: 1-line block ×3, first 2 shown]
	v_and_b32_e32 v46, 16, v1
	v_cmp_eq_u32_e64 s[6:7], 0, v46
	v_or_b32_e32 v46, 63, v0
	v_cmp_eq_u32_e64 s[10:11], v46, v0
	v_add_u32_e32 v46, -1, v1
	v_and_b32_e32 v47, 64, v1
	v_cmp_lt_i32_e64 s[16:17], v46, v47
	v_lshrrev_b32_e32 v47, 3, v0
	v_cmp_gt_u32_e64 s[12:13], 4, v0
	v_cmp_lt_u32_e64 s[14:15], 63, v0
	v_cndmask_b32_e64 v46, v46, v1, s[16:17]
	v_cmp_eq_u32_e64 s[16:17], 0, v0
	v_and_b32_e32 v47, 24, v47
	v_lshlrev_b32_e32 v48, 3, v0
	v_and_b32_e32 v0, 3, v1
	v_cmp_eq_u32_e64 s[8:9], 0, v1
	v_lshlrev_b32_e32 v46, 2, v46
	v_cmp_lt_u32_e64 s[18:19], 31, v1
	v_cmp_eq_u32_e64 s[20:21], 0, v0
	v_cmp_lt_u32_e64 s[22:23], 1, v0
	v_add_u32_e32 v49, -8, v47
	s_movk_i32 s30, 0x64
.LBB202_1:                              ; =>This Inner Loop Header: Depth=1
	s_waitcnt vmcnt(9)
	v_add_f64 v[0:1], v[28:29], v[30:31]
	s_waitcnt vmcnt(8)
	v_add_f64 v[0:1], v[26:27], v[0:1]
	;; [unrolled: 2-line block ×10, first 2 shown]
	s_nop 1
	v_mov_b32_dpp v44, v0 row_shr:1 row_mask:0xf bank_mask:0xf
	v_mov_b32_dpp v45, v1 row_shr:1 row_mask:0xf bank_mask:0xf
	v_add_f64 v[44:45], v[0:1], v[44:45]
	v_cndmask_b32_e32 v44, v44, v0, vcc
	v_cndmask_b32_e32 v45, v45, v1, vcc
	s_nop 0
	v_mov_b32_dpp v50, v44 row_shr:2 row_mask:0xf bank_mask:0xf
	v_mov_b32_dpp v51, v45 row_shr:2 row_mask:0xf bank_mask:0xf
	v_add_f64 v[50:51], v[44:45], v[50:51]
	v_cndmask_b32_e64 v44, v44, v50, s[0:1]
	v_cndmask_b32_e64 v45, v45, v51, s[0:1]
	s_nop 0
	v_mov_b32_dpp v50, v44 row_shr:4 row_mask:0xf bank_mask:0xf
	v_mov_b32_dpp v51, v45 row_shr:4 row_mask:0xf bank_mask:0xf
	v_add_f64 v[50:51], v[44:45], v[50:51]
	v_cndmask_b32_e64 v44, v44, v50, s[2:3]
	v_cndmask_b32_e64 v45, v45, v51, s[2:3]
	;; [unrolled: 6-line block ×3, first 2 shown]
	s_nop 0
	v_mov_b32_dpp v50, v44 row_bcast:15 row_mask:0xf bank_mask:0xf
	v_mov_b32_dpp v51, v45 row_bcast:15 row_mask:0xf bank_mask:0xf
	v_add_f64 v[50:51], v[44:45], v[50:51]
	v_cndmask_b32_e64 v44, v50, v44, s[6:7]
	v_cndmask_b32_e64 v45, v51, v45, s[6:7]
	s_nop 0
	v_mov_b32_dpp v50, v44 row_bcast:31 row_mask:0xf bank_mask:0xf
	v_mov_b32_dpp v51, v45 row_bcast:31 row_mask:0xf bank_mask:0xf
	v_add_f64 v[50:51], v[44:45], v[50:51]
	v_cndmask_b32_e64 v44, v44, v50, s[18:19]
	v_cndmask_b32_e64 v45, v45, v51, s[18:19]
	;; [unrolled: 1-line block ×4, first 2 shown]
	s_and_saveexec_b64 s[24:25], s[10:11]
	s_cbranch_execz .LBB202_3
; %bb.2:                                ;   in Loop: Header=BB202_1 Depth=1
	ds_write_b64 v47, v[0:1]
.LBB202_3:                              ;   in Loop: Header=BB202_1 Depth=1
	s_or_b64 exec, exec, s[24:25]
	s_waitcnt lgkmcnt(0)
	s_barrier
	s_and_saveexec_b64 s[24:25], s[12:13]
	s_cbranch_execz .LBB202_5
; %bb.4:                                ;   in Loop: Header=BB202_1 Depth=1
	ds_read_b64 v[44:45], v48
	s_waitcnt lgkmcnt(0)
	s_nop 0
	v_mov_b32_dpp v50, v44 row_shr:1 row_mask:0xf bank_mask:0xf
	v_mov_b32_dpp v51, v45 row_shr:1 row_mask:0xf bank_mask:0xf
	v_add_f64 v[50:51], v[44:45], v[50:51]
	v_cndmask_b32_e64 v45, v51, v45, s[20:21]
	v_cndmask_b32_e64 v44, v50, v44, s[20:21]
	s_nop 0
	v_mov_b32_dpp v51, v45 row_shr:2 row_mask:0xf bank_mask:0xf
	v_mov_b32_dpp v50, v44 row_shr:2 row_mask:0xf bank_mask:0xf
	v_add_f64 v[50:51], v[44:45], v[50:51]
	v_cndmask_b32_e64 v45, v45, v51, s[22:23]
	v_cndmask_b32_e64 v44, v44, v50, s[22:23]
	ds_write_b64 v48, v[44:45]
.LBB202_5:                              ;   in Loop: Header=BB202_1 Depth=1
	s_or_b64 exec, exec, s[24:25]
	v_mov_b64_e32 v[44:45], s[28:29]
	s_waitcnt lgkmcnt(0)
	s_barrier
	s_and_saveexec_b64 s[24:25], s[14:15]
	s_cbranch_execz .LBB202_7
; %bb.6:                                ;   in Loop: Header=BB202_1 Depth=1
	ds_read_b64 v[44:45], v49
	s_waitcnt lgkmcnt(0)
	v_add_f64 v[44:45], v[44:45], s[28:29]
.LBB202_7:                              ;   in Loop: Header=BB202_1 Depth=1
	s_or_b64 exec, exec, s[24:25]
	v_add_f64 v[0:1], v[0:1], v[44:45]
	ds_bpermute_b32 v0, v46, v0
	ds_bpermute_b32 v1, v46, v1
	v_mov_b32_e32 v50, s29
	v_mov_b32_e32 v51, s28
	s_add_i32 s30, s30, -1
	s_waitcnt lgkmcnt(1)
	v_cndmask_b32_e64 v0, v0, v44, s[8:9]
	s_waitcnt lgkmcnt(0)
	v_cndmask_b32_e64 v1, v1, v45, s[8:9]
	v_cndmask_b32_e64 v1, v1, v50, s[16:17]
	;; [unrolled: 1-line block ×3, first 2 shown]
	v_add_f64 v[30:31], v[30:31], v[0:1]
	v_add_f64 v[28:29], v[28:29], v[30:31]
	;; [unrolled: 1-line block ×9, first 2 shown]
	s_cmp_lg_u32 s30, 0
	v_add_f64 v[44:45], v[40:41], v[42:43]
	s_cbranch_scc0 .LBB202_9
; %bb.8:                                ;   in Loop: Header=BB202_1 Depth=1
	v_mov_b64_e32 v[40:41], v[42:43]
	v_mov_b64_e32 v[42:43], v[32:33]
	;; [unrolled: 1-line block ×10, first 2 shown]
	s_branch .LBB202_1
.LBB202_9:
	v_lshl_add_u64 v[2:3], v[2:3], 3, s[26:27]
	global_store_dwordx2 v[2:3], v[0:1], off
	v_lshl_add_u64 v[0:1], v[4:5], 3, s[26:27]
	global_store_dwordx2 v[0:1], v[30:31], off
	;; [unrolled: 2-line block ×11, first 2 shown]
	s_endpgm
	.section	.rodata,"a",@progbits
	.p2align	6, 0x0
	.amdhsa_kernel _Z6kernelI14exclusive_scanILN6hipcub18BlockScanAlgorithmE0EEdLj256ELj11ELj100EEvPKT0_PS4_S4_
		.amdhsa_group_segment_fixed_size 32
		.amdhsa_private_segment_fixed_size 0
		.amdhsa_kernarg_size 280
		.amdhsa_user_sgpr_count 2
		.amdhsa_user_sgpr_dispatch_ptr 0
		.amdhsa_user_sgpr_queue_ptr 0
		.amdhsa_user_sgpr_kernarg_segment_ptr 1
		.amdhsa_user_sgpr_dispatch_id 0
		.amdhsa_user_sgpr_kernarg_preload_length 0
		.amdhsa_user_sgpr_kernarg_preload_offset 0
		.amdhsa_user_sgpr_private_segment_size 0
		.amdhsa_uses_dynamic_stack 0
		.amdhsa_enable_private_segment 0
		.amdhsa_system_sgpr_workgroup_id_x 1
		.amdhsa_system_sgpr_workgroup_id_y 0
		.amdhsa_system_sgpr_workgroup_id_z 0
		.amdhsa_system_sgpr_workgroup_info 0
		.amdhsa_system_vgpr_workitem_id 0
		.amdhsa_next_free_vgpr 52
		.amdhsa_next_free_sgpr 31
		.amdhsa_accum_offset 52
		.amdhsa_reserve_vcc 1
		.amdhsa_float_round_mode_32 0
		.amdhsa_float_round_mode_16_64 0
		.amdhsa_float_denorm_mode_32 3
		.amdhsa_float_denorm_mode_16_64 3
		.amdhsa_dx10_clamp 1
		.amdhsa_ieee_mode 1
		.amdhsa_fp16_overflow 0
		.amdhsa_tg_split 0
		.amdhsa_exception_fp_ieee_invalid_op 0
		.amdhsa_exception_fp_denorm_src 0
		.amdhsa_exception_fp_ieee_div_zero 0
		.amdhsa_exception_fp_ieee_overflow 0
		.amdhsa_exception_fp_ieee_underflow 0
		.amdhsa_exception_fp_ieee_inexact 0
		.amdhsa_exception_int_div_zero 0
	.end_amdhsa_kernel
	.section	.text._Z6kernelI14exclusive_scanILN6hipcub18BlockScanAlgorithmE0EEdLj256ELj11ELj100EEvPKT0_PS4_S4_,"axG",@progbits,_Z6kernelI14exclusive_scanILN6hipcub18BlockScanAlgorithmE0EEdLj256ELj11ELj100EEvPKT0_PS4_S4_,comdat
.Lfunc_end202:
	.size	_Z6kernelI14exclusive_scanILN6hipcub18BlockScanAlgorithmE0EEdLj256ELj11ELj100EEvPKT0_PS4_S4_, .Lfunc_end202-_Z6kernelI14exclusive_scanILN6hipcub18BlockScanAlgorithmE0EEdLj256ELj11ELj100EEvPKT0_PS4_S4_
                                        ; -- End function
	.section	.AMDGPU.csdata,"",@progbits
; Kernel info:
; codeLenInByte = 1464
; NumSgprs: 37
; NumVgprs: 52
; NumAgprs: 0
; TotalNumVgprs: 52
; ScratchSize: 0
; MemoryBound: 0
; FloatMode: 240
; IeeeMode: 1
; LDSByteSize: 32 bytes/workgroup (compile time only)
; SGPRBlocks: 4
; VGPRBlocks: 6
; NumSGPRsForWavesPerEU: 37
; NumVGPRsForWavesPerEU: 52
; AccumOffset: 52
; Occupancy: 8
; WaveLimiterHint : 0
; COMPUTE_PGM_RSRC2:SCRATCH_EN: 0
; COMPUTE_PGM_RSRC2:USER_SGPR: 2
; COMPUTE_PGM_RSRC2:TRAP_HANDLER: 0
; COMPUTE_PGM_RSRC2:TGID_X_EN: 1
; COMPUTE_PGM_RSRC2:TGID_Y_EN: 0
; COMPUTE_PGM_RSRC2:TGID_Z_EN: 0
; COMPUTE_PGM_RSRC2:TIDIG_COMP_CNT: 0
; COMPUTE_PGM_RSRC3_GFX90A:ACCUM_OFFSET: 12
; COMPUTE_PGM_RSRC3_GFX90A:TG_SPLIT: 0
	.section	.text._Z6kernelI14exclusive_scanILN6hipcub18BlockScanAlgorithmE0EEdLj256ELj16ELj100EEvPKT0_PS4_S4_,"axG",@progbits,_Z6kernelI14exclusive_scanILN6hipcub18BlockScanAlgorithmE0EEdLj256ELj16ELj100EEvPKT0_PS4_S4_,comdat
	.protected	_Z6kernelI14exclusive_scanILN6hipcub18BlockScanAlgorithmE0EEdLj256ELj16ELj100EEvPKT0_PS4_S4_ ; -- Begin function _Z6kernelI14exclusive_scanILN6hipcub18BlockScanAlgorithmE0EEdLj256ELj16ELj100EEvPKT0_PS4_S4_
	.globl	_Z6kernelI14exclusive_scanILN6hipcub18BlockScanAlgorithmE0EEdLj256ELj16ELj100EEvPKT0_PS4_S4_
	.p2align	8
	.type	_Z6kernelI14exclusive_scanILN6hipcub18BlockScanAlgorithmE0EEdLj256ELj16ELj100EEvPKT0_PS4_S4_,@function
_Z6kernelI14exclusive_scanILN6hipcub18BlockScanAlgorithmE0EEdLj256ELj16ELj100EEvPKT0_PS4_S4_: ; @_Z6kernelI14exclusive_scanILN6hipcub18BlockScanAlgorithmE0EEdLj256ELj16ELj100EEvPKT0_PS4_S4_
; %bb.0:
	s_load_dwordx4 s[24:27], s[0:1], 0x0
	s_load_dword s3, s[0:1], 0x24
	s_load_dwordx2 s[28:29], s[0:1], 0x10
	v_mov_b32_e32 v47, 0
	v_mbcnt_lo_u32_b32 v1, -1, 0
	s_waitcnt lgkmcnt(0)
	v_mov_b32_e32 v2, s24
	s_and_b32 s0, s3, 0xffff
	s_mul_i32 s2, s2, s0
	v_mov_b32_e32 v3, s25
	v_add_lshl_u32 v46, s2, v0, 4
	v_lshl_add_u64 v[34:35], v[46:47], 3, v[2:3]
	global_load_dwordx4 v[6:9], v[34:35], off offset:48
	global_load_dwordx4 v[10:13], v[34:35], off offset:32
	;; [unrolled: 1-line block ×3, first 2 shown]
	global_load_dwordx4 v[18:21], v[34:35], off
	global_load_dwordx4 v[2:5], v[34:35], off offset:112
	global_load_dwordx4 v[22:25], v[34:35], off offset:96
	;; [unrolled: 1-line block ×4, first 2 shown]
	v_mbcnt_hi_u32_b32 v1, -1, v1
	v_and_b32_e32 v34, 15, v1
	v_cmp_eq_u32_e32 vcc, 0, v34
	v_cmp_lt_u32_e64 s[0:1], 1, v34
	v_cmp_lt_u32_e64 s[2:3], 3, v34
	;; [unrolled: 1-line block ×3, first 2 shown]
	v_and_b32_e32 v34, 16, v1
	v_cmp_eq_u32_e64 s[6:7], 0, v34
	v_or_b32_e32 v34, 63, v0
	v_cmp_eq_u32_e64 s[10:11], v34, v0
	v_add_u32_e32 v34, -1, v1
	v_and_b32_e32 v35, 64, v1
	v_cmp_lt_i32_e64 s[16:17], v34, v35
	v_cmp_gt_u32_e64 s[12:13], 4, v0
	v_cmp_lt_u32_e64 s[14:15], 63, v0
	v_cndmask_b32_e64 v34, v34, v1, s[16:17]
	v_lshlrev_b32_e32 v48, 2, v34
	v_lshrrev_b32_e32 v34, 3, v0
	v_cmp_eq_u32_e64 s[16:17], 0, v0
	v_and_b32_e32 v49, 24, v34
	v_lshlrev_b32_e32 v50, 3, v0
	v_and_b32_e32 v0, 3, v1
	v_cmp_eq_u32_e64 s[8:9], 0, v1
	v_cmp_lt_u32_e64 s[18:19], 31, v1
	v_cmp_eq_u32_e64 s[20:21], 0, v0
	v_cmp_lt_u32_e64 s[22:23], 1, v0
	v_add_u32_e32 v51, -8, v49
	s_movk_i32 s30, 0x64
.LBB203_1:                              ; =>This Inner Loop Header: Depth=1
	s_waitcnt vmcnt(4)
	v_add_f64 v[0:1], v[20:21], v[18:19]
	v_add_f64 v[0:1], v[14:15], v[0:1]
	;; [unrolled: 1-line block ×7, first 2 shown]
	s_waitcnt vmcnt(0)
	v_add_f64 v[0:1], v[30:31], v[0:1]
	v_add_f64 v[0:1], v[32:33], v[0:1]
	;; [unrolled: 1-line block ×8, first 2 shown]
	s_nop 1
	v_mov_b32_dpp v4, v0 row_shr:1 row_mask:0xf bank_mask:0xf
	v_mov_b32_dpp v5, v1 row_shr:1 row_mask:0xf bank_mask:0xf
	v_add_f64 v[4:5], v[0:1], v[4:5]
	v_cndmask_b32_e32 v4, v4, v0, vcc
	v_cndmask_b32_e32 v5, v5, v1, vcc
	s_nop 0
	v_mov_b32_dpp v34, v4 row_shr:2 row_mask:0xf bank_mask:0xf
	v_mov_b32_dpp v35, v5 row_shr:2 row_mask:0xf bank_mask:0xf
	v_add_f64 v[34:35], v[4:5], v[34:35]
	v_cndmask_b32_e64 v4, v4, v34, s[0:1]
	v_cndmask_b32_e64 v5, v5, v35, s[0:1]
	s_nop 0
	v_mov_b32_dpp v34, v4 row_shr:4 row_mask:0xf bank_mask:0xf
	v_mov_b32_dpp v35, v5 row_shr:4 row_mask:0xf bank_mask:0xf
	v_add_f64 v[34:35], v[4:5], v[34:35]
	v_cndmask_b32_e64 v4, v4, v34, s[2:3]
	v_cndmask_b32_e64 v5, v5, v35, s[2:3]
	;; [unrolled: 6-line block ×3, first 2 shown]
	s_nop 0
	v_mov_b32_dpp v34, v4 row_bcast:15 row_mask:0xf bank_mask:0xf
	v_mov_b32_dpp v35, v5 row_bcast:15 row_mask:0xf bank_mask:0xf
	v_add_f64 v[34:35], v[4:5], v[34:35]
	v_cndmask_b32_e64 v4, v34, v4, s[6:7]
	v_cndmask_b32_e64 v5, v35, v5, s[6:7]
	s_nop 0
	v_mov_b32_dpp v34, v4 row_bcast:31 row_mask:0xf bank_mask:0xf
	v_mov_b32_dpp v35, v5 row_bcast:31 row_mask:0xf bank_mask:0xf
	v_add_f64 v[34:35], v[4:5], v[34:35]
	v_cndmask_b32_e64 v4, v4, v34, s[18:19]
	v_cndmask_b32_e64 v5, v5, v35, s[18:19]
	;; [unrolled: 1-line block ×4, first 2 shown]
	s_and_saveexec_b64 s[24:25], s[10:11]
	s_cbranch_execz .LBB203_3
; %bb.2:                                ;   in Loop: Header=BB203_1 Depth=1
	ds_write_b64 v49, v[0:1]
.LBB203_3:                              ;   in Loop: Header=BB203_1 Depth=1
	s_or_b64 exec, exec, s[24:25]
	s_waitcnt lgkmcnt(0)
	s_barrier
	s_and_saveexec_b64 s[24:25], s[12:13]
	s_cbranch_execz .LBB203_5
; %bb.4:                                ;   in Loop: Header=BB203_1 Depth=1
	ds_read_b64 v[4:5], v50
	s_waitcnt lgkmcnt(0)
	s_nop 0
	v_mov_b32_dpp v34, v4 row_shr:1 row_mask:0xf bank_mask:0xf
	v_mov_b32_dpp v35, v5 row_shr:1 row_mask:0xf bank_mask:0xf
	v_add_f64 v[34:35], v[4:5], v[34:35]
	v_cndmask_b32_e64 v5, v35, v5, s[20:21]
	v_cndmask_b32_e64 v4, v34, v4, s[20:21]
	s_nop 0
	v_mov_b32_dpp v35, v5 row_shr:2 row_mask:0xf bank_mask:0xf
	v_mov_b32_dpp v34, v4 row_shr:2 row_mask:0xf bank_mask:0xf
	v_add_f64 v[34:35], v[4:5], v[34:35]
	v_cndmask_b32_e64 v5, v5, v35, s[22:23]
	v_cndmask_b32_e64 v4, v4, v34, s[22:23]
	ds_write_b64 v50, v[4:5]
.LBB203_5:                              ;   in Loop: Header=BB203_1 Depth=1
	s_or_b64 exec, exec, s[24:25]
	v_mov_b64_e32 v[4:5], s[28:29]
	s_waitcnt lgkmcnt(0)
	s_barrier
	s_and_saveexec_b64 s[24:25], s[14:15]
	s_cbranch_execz .LBB203_7
; %bb.6:                                ;   in Loop: Header=BB203_1 Depth=1
	ds_read_b64 v[4:5], v51
	s_waitcnt lgkmcnt(0)
	v_add_f64 v[4:5], v[4:5], s[28:29]
.LBB203_7:                              ;   in Loop: Header=BB203_1 Depth=1
	s_or_b64 exec, exec, s[24:25]
	v_add_f64 v[0:1], v[0:1], v[4:5]
	ds_bpermute_b32 v0, v48, v0
	ds_bpermute_b32 v1, v48, v1
	v_mov_b32_e32 v34, s29
	v_mov_b32_e32 v35, s28
	s_add_i32 s30, s30, -1
	s_waitcnt lgkmcnt(1)
	v_cndmask_b32_e64 v0, v0, v4, s[8:9]
	s_waitcnt lgkmcnt(0)
	v_cndmask_b32_e64 v1, v1, v5, s[8:9]
	v_cndmask_b32_e64 v43, v1, v34, s[16:17]
	;; [unrolled: 1-line block ×3, first 2 shown]
	v_add_f64 v[44:45], v[18:19], v[42:43]
	v_add_f64 v[38:39], v[20:21], v[44:45]
	;; [unrolled: 1-line block ×14, first 2 shown]
	s_cmp_lg_u32 s30, 0
	v_add_f64 v[4:5], v[2:3], v[0:1]
	s_cbranch_scc0 .LBB203_9
; %bb.8:                                ;   in Loop: Header=BB203_1 Depth=1
	v_mov_b64_e32 v[2:3], v[0:1]
	v_mov_b64_e32 v[24:25], v[8:9]
	;; [unrolled: 1-line block ×15, first 2 shown]
	s_branch .LBB203_1
.LBB203_9:
	v_mov_b32_e32 v2, s26
	v_mov_b32_e32 v3, s27
	v_lshl_add_u64 v[22:23], v[46:47], 3, v[2:3]
	v_mov_b32_e32 v2, v4
	v_mov_b32_e32 v3, v5
	global_store_dwordx4 v[22:23], v[42:45], off
	global_store_dwordx4 v[22:23], v[38:41], off offset:16
	global_store_dwordx4 v[22:23], v[34:37], off offset:32
	;; [unrolled: 1-line block ×7, first 2 shown]
	s_endpgm
	.section	.rodata,"a",@progbits
	.p2align	6, 0x0
	.amdhsa_kernel _Z6kernelI14exclusive_scanILN6hipcub18BlockScanAlgorithmE0EEdLj256ELj16ELj100EEvPKT0_PS4_S4_
		.amdhsa_group_segment_fixed_size 32
		.amdhsa_private_segment_fixed_size 0
		.amdhsa_kernarg_size 280
		.amdhsa_user_sgpr_count 2
		.amdhsa_user_sgpr_dispatch_ptr 0
		.amdhsa_user_sgpr_queue_ptr 0
		.amdhsa_user_sgpr_kernarg_segment_ptr 1
		.amdhsa_user_sgpr_dispatch_id 0
		.amdhsa_user_sgpr_kernarg_preload_length 0
		.amdhsa_user_sgpr_kernarg_preload_offset 0
		.amdhsa_user_sgpr_private_segment_size 0
		.amdhsa_uses_dynamic_stack 0
		.amdhsa_enable_private_segment 0
		.amdhsa_system_sgpr_workgroup_id_x 1
		.amdhsa_system_sgpr_workgroup_id_y 0
		.amdhsa_system_sgpr_workgroup_id_z 0
		.amdhsa_system_sgpr_workgroup_info 0
		.amdhsa_system_vgpr_workitem_id 0
		.amdhsa_next_free_vgpr 52
		.amdhsa_next_free_sgpr 31
		.amdhsa_accum_offset 52
		.amdhsa_reserve_vcc 1
		.amdhsa_float_round_mode_32 0
		.amdhsa_float_round_mode_16_64 0
		.amdhsa_float_denorm_mode_32 3
		.amdhsa_float_denorm_mode_16_64 3
		.amdhsa_dx10_clamp 1
		.amdhsa_ieee_mode 1
		.amdhsa_fp16_overflow 0
		.amdhsa_tg_split 0
		.amdhsa_exception_fp_ieee_invalid_op 0
		.amdhsa_exception_fp_denorm_src 0
		.amdhsa_exception_fp_ieee_div_zero 0
		.amdhsa_exception_fp_ieee_overflow 0
		.amdhsa_exception_fp_ieee_underflow 0
		.amdhsa_exception_fp_ieee_inexact 0
		.amdhsa_exception_int_div_zero 0
	.end_amdhsa_kernel
	.section	.text._Z6kernelI14exclusive_scanILN6hipcub18BlockScanAlgorithmE0EEdLj256ELj16ELj100EEvPKT0_PS4_S4_,"axG",@progbits,_Z6kernelI14exclusive_scanILN6hipcub18BlockScanAlgorithmE0EEdLj256ELj16ELj100EEvPKT0_PS4_S4_,comdat
.Lfunc_end203:
	.size	_Z6kernelI14exclusive_scanILN6hipcub18BlockScanAlgorithmE0EEdLj256ELj16ELj100EEvPKT0_PS4_S4_, .Lfunc_end203-_Z6kernelI14exclusive_scanILN6hipcub18BlockScanAlgorithmE0EEdLj256ELj16ELj100EEvPKT0_PS4_S4_
                                        ; -- End function
	.section	.AMDGPU.csdata,"",@progbits
; Kernel info:
; codeLenInByte = 1264
; NumSgprs: 37
; NumVgprs: 52
; NumAgprs: 0
; TotalNumVgprs: 52
; ScratchSize: 0
; MemoryBound: 0
; FloatMode: 240
; IeeeMode: 1
; LDSByteSize: 32 bytes/workgroup (compile time only)
; SGPRBlocks: 4
; VGPRBlocks: 6
; NumSGPRsForWavesPerEU: 37
; NumVGPRsForWavesPerEU: 52
; AccumOffset: 52
; Occupancy: 8
; WaveLimiterHint : 0
; COMPUTE_PGM_RSRC2:SCRATCH_EN: 0
; COMPUTE_PGM_RSRC2:USER_SGPR: 2
; COMPUTE_PGM_RSRC2:TRAP_HANDLER: 0
; COMPUTE_PGM_RSRC2:TGID_X_EN: 1
; COMPUTE_PGM_RSRC2:TGID_Y_EN: 0
; COMPUTE_PGM_RSRC2:TGID_Z_EN: 0
; COMPUTE_PGM_RSRC2:TIDIG_COMP_CNT: 0
; COMPUTE_PGM_RSRC3_GFX90A:ACCUM_OFFSET: 12
; COMPUTE_PGM_RSRC3_GFX90A:TG_SPLIT: 0
	.section	.text._Z6kernelI14exclusive_scanILN6hipcub18BlockScanAlgorithmE0EEhLj256ELj1ELj100EEvPKT0_PS4_S4_,"axG",@progbits,_Z6kernelI14exclusive_scanILN6hipcub18BlockScanAlgorithmE0EEhLj256ELj1ELj100EEvPKT0_PS4_S4_,comdat
	.protected	_Z6kernelI14exclusive_scanILN6hipcub18BlockScanAlgorithmE0EEhLj256ELj1ELj100EEvPKT0_PS4_S4_ ; -- Begin function _Z6kernelI14exclusive_scanILN6hipcub18BlockScanAlgorithmE0EEhLj256ELj1ELj100EEvPKT0_PS4_S4_
	.globl	_Z6kernelI14exclusive_scanILN6hipcub18BlockScanAlgorithmE0EEhLj256ELj1ELj100EEvPKT0_PS4_S4_
	.p2align	8
	.type	_Z6kernelI14exclusive_scanILN6hipcub18BlockScanAlgorithmE0EEhLj256ELj1ELj100EEvPKT0_PS4_S4_,@function
_Z6kernelI14exclusive_scanILN6hipcub18BlockScanAlgorithmE0EEhLj256ELj1ELj100EEvPKT0_PS4_S4_: ; @_Z6kernelI14exclusive_scanILN6hipcub18BlockScanAlgorithmE0EEhLj256ELj1ELj100EEvPKT0_PS4_S4_
; %bb.0:
	s_load_dword s3, s[0:1], 0x24
	s_load_dwordx4 s[20:23], s[0:1], 0x0
	s_load_dword s26, s[0:1], 0x10
	v_mbcnt_lo_u32_b32 v1, -1, 0
	v_mbcnt_hi_u32_b32 v5, -1, v1
	s_waitcnt lgkmcnt(0)
	s_and_b32 s0, s3, 0xffff
	s_mul_i32 s2, s2, s0
	v_add_u32_e32 v2, s2, v0
	global_load_ubyte v6, v2, s[20:21]
	v_or_b32_e32 v4, 63, v0
	v_and_b32_e32 v1, 15, v5
	v_cmp_eq_u32_e64 s[10:11], v4, v0
	v_add_u32_e32 v4, -1, v5
	v_and_b32_e32 v7, 64, v5
	v_cmp_eq_u32_e32 vcc, 0, v1
	v_cmp_lt_u32_e64 s[0:1], 1, v1
	v_cmp_lt_u32_e64 s[2:3], 3, v1
	;; [unrolled: 1-line block ×3, first 2 shown]
	v_and_b32_e32 v1, 16, v5
	v_cmp_lt_i32_e64 s[16:17], v4, v7
	v_cmp_eq_u32_e64 s[6:7], 0, v1
	v_cmp_lt_u32_e64 s[8:9], 31, v5
	v_lshrrev_b32_e32 v1, 6, v0
	v_cndmask_b32_e64 v4, v4, v5, s[16:17]
	v_cmp_eq_u32_e64 s[16:17], 0, v5
	v_and_b32_e32 v5, 3, v5
	v_mov_b32_e32 v3, 0
	v_cmp_gt_u32_e64 s[12:13], 4, v0
	v_cmp_lt_u32_e64 s[14:15], 63, v0
	v_lshlrev_b32_e32 v4, 2, v4
	v_cmp_eq_u32_e64 s[18:19], 0, v5
	v_cmp_lt_u32_e64 s[20:21], 1, v5
	v_add_u32_e32 v5, -1, v1
	s_movk_i32 s27, 0x64
	s_branch .LBB204_2
.LBB204_1:                              ;   in Loop: Header=BB204_2 Depth=1
	s_or_b64 exec, exec, s[24:25]
	v_add_u16_e32 v6, v7, v6
	v_and_b32_e32 v6, 0xff, v6
	ds_bpermute_b32 v6, v4, v6
	s_add_i32 s27, s27, -1
	s_cmp_lg_u32 s27, 0
	s_waitcnt lgkmcnt(0)
	v_cndmask_b32_e64 v6, v6, v7, s[16:17]
	s_cbranch_scc0 .LBB204_8
.LBB204_2:                              ; =>This Inner Loop Header: Depth=1
	s_waitcnt vmcnt(0)
	v_and_b32_e32 v7, 0xff, v6
	s_nop 1
	v_mov_b32_dpp v7, v7 row_shr:1 row_mask:0xf bank_mask:0xf
	v_cndmask_b32_e64 v7, v7, 0, vcc
	v_add_u16_e32 v6, v7, v6
	v_and_b32_e32 v7, 0xff, v6
	s_nop 1
	v_mov_b32_dpp v7, v7 row_shr:2 row_mask:0xf bank_mask:0xf
	v_cndmask_b32_e64 v7, 0, v7, s[0:1]
	v_add_u16_e32 v6, v6, v7
	v_and_b32_e32 v7, 0xff, v6
	s_nop 1
	v_mov_b32_dpp v7, v7 row_shr:4 row_mask:0xf bank_mask:0xf
	v_cndmask_b32_e64 v7, 0, v7, s[2:3]
	;; [unrolled: 5-line block ×3, first 2 shown]
	v_add_u16_e32 v6, v6, v7
	v_and_b32_e32 v7, 0xff, v6
	s_nop 1
	v_mov_b32_dpp v7, v7 row_bcast:15 row_mask:0xf bank_mask:0xf
	v_cndmask_b32_e64 v7, v7, 0, s[6:7]
	v_add_u16_e32 v6, v6, v7
	v_and_b32_e32 v7, 0xff, v6
	s_nop 1
	v_mov_b32_dpp v7, v7 row_bcast:31 row_mask:0xf bank_mask:0xf
	v_cndmask_b32_e64 v7, 0, v7, s[8:9]
	v_add_u16_e32 v6, v6, v7
	s_and_saveexec_b64 s[24:25], s[10:11]
	s_cbranch_execz .LBB204_4
; %bb.3:                                ;   in Loop: Header=BB204_2 Depth=1
	ds_write_b8 v1, v6
.LBB204_4:                              ;   in Loop: Header=BB204_2 Depth=1
	s_or_b64 exec, exec, s[24:25]
	s_waitcnt lgkmcnt(0)
	s_barrier
	s_and_saveexec_b64 s[24:25], s[12:13]
	s_cbranch_execz .LBB204_6
; %bb.5:                                ;   in Loop: Header=BB204_2 Depth=1
	ds_read_u8 v7, v0
	s_waitcnt lgkmcnt(0)
	v_and_b32_e32 v8, 0xff, v7
	s_nop 1
	v_mov_b32_dpp v8, v8 row_shr:1 row_mask:0xf bank_mask:0xf
	v_cndmask_b32_e64 v8, v8, 0, s[18:19]
	v_add_u16_e32 v7, v8, v7
	v_and_b32_e32 v8, 0xff, v7
	s_nop 1
	v_mov_b32_dpp v8, v8 row_shr:2 row_mask:0xf bank_mask:0xf
	v_cndmask_b32_e64 v8, 0, v8, s[20:21]
	v_add_u16_e32 v7, v7, v8
	ds_write_b8 v0, v7
.LBB204_6:                              ;   in Loop: Header=BB204_2 Depth=1
	s_or_b64 exec, exec, s[24:25]
	v_mov_b32_e32 v7, s26
	s_waitcnt lgkmcnt(0)
	s_barrier
	s_and_saveexec_b64 s[24:25], s[14:15]
	s_cbranch_execz .LBB204_1
; %bb.7:                                ;   in Loop: Header=BB204_2 Depth=1
	ds_read_u8 v7, v5
	s_waitcnt lgkmcnt(0)
	v_add_u16_e32 v7, s26, v7
	s_branch .LBB204_1
.LBB204_8:
	v_lshl_add_u64 v[0:1], s[22:23], 0, v[2:3]
	global_store_byte v[0:1], v6, off
	s_endpgm
	.section	.rodata,"a",@progbits
	.p2align	6, 0x0
	.amdhsa_kernel _Z6kernelI14exclusive_scanILN6hipcub18BlockScanAlgorithmE0EEhLj256ELj1ELj100EEvPKT0_PS4_S4_
		.amdhsa_group_segment_fixed_size 4
		.amdhsa_private_segment_fixed_size 0
		.amdhsa_kernarg_size 280
		.amdhsa_user_sgpr_count 2
		.amdhsa_user_sgpr_dispatch_ptr 0
		.amdhsa_user_sgpr_queue_ptr 0
		.amdhsa_user_sgpr_kernarg_segment_ptr 1
		.amdhsa_user_sgpr_dispatch_id 0
		.amdhsa_user_sgpr_kernarg_preload_length 0
		.amdhsa_user_sgpr_kernarg_preload_offset 0
		.amdhsa_user_sgpr_private_segment_size 0
		.amdhsa_uses_dynamic_stack 0
		.amdhsa_enable_private_segment 0
		.amdhsa_system_sgpr_workgroup_id_x 1
		.amdhsa_system_sgpr_workgroup_id_y 0
		.amdhsa_system_sgpr_workgroup_id_z 0
		.amdhsa_system_sgpr_workgroup_info 0
		.amdhsa_system_vgpr_workitem_id 0
		.amdhsa_next_free_vgpr 9
		.amdhsa_next_free_sgpr 28
		.amdhsa_accum_offset 12
		.amdhsa_reserve_vcc 1
		.amdhsa_float_round_mode_32 0
		.amdhsa_float_round_mode_16_64 0
		.amdhsa_float_denorm_mode_32 3
		.amdhsa_float_denorm_mode_16_64 3
		.amdhsa_dx10_clamp 1
		.amdhsa_ieee_mode 1
		.amdhsa_fp16_overflow 0
		.amdhsa_tg_split 0
		.amdhsa_exception_fp_ieee_invalid_op 0
		.amdhsa_exception_fp_denorm_src 0
		.amdhsa_exception_fp_ieee_div_zero 0
		.amdhsa_exception_fp_ieee_overflow 0
		.amdhsa_exception_fp_ieee_underflow 0
		.amdhsa_exception_fp_ieee_inexact 0
		.amdhsa_exception_int_div_zero 0
	.end_amdhsa_kernel
	.section	.text._Z6kernelI14exclusive_scanILN6hipcub18BlockScanAlgorithmE0EEhLj256ELj1ELj100EEvPKT0_PS4_S4_,"axG",@progbits,_Z6kernelI14exclusive_scanILN6hipcub18BlockScanAlgorithmE0EEhLj256ELj1ELj100EEvPKT0_PS4_S4_,comdat
.Lfunc_end204:
	.size	_Z6kernelI14exclusive_scanILN6hipcub18BlockScanAlgorithmE0EEhLj256ELj1ELj100EEvPKT0_PS4_S4_, .Lfunc_end204-_Z6kernelI14exclusive_scanILN6hipcub18BlockScanAlgorithmE0EEhLj256ELj1ELj100EEvPKT0_PS4_S4_
                                        ; -- End function
	.section	.AMDGPU.csdata,"",@progbits
; Kernel info:
; codeLenInByte = 652
; NumSgprs: 34
; NumVgprs: 9
; NumAgprs: 0
; TotalNumVgprs: 9
; ScratchSize: 0
; MemoryBound: 0
; FloatMode: 240
; IeeeMode: 1
; LDSByteSize: 4 bytes/workgroup (compile time only)
; SGPRBlocks: 4
; VGPRBlocks: 1
; NumSGPRsForWavesPerEU: 34
; NumVGPRsForWavesPerEU: 9
; AccumOffset: 12
; Occupancy: 8
; WaveLimiterHint : 0
; COMPUTE_PGM_RSRC2:SCRATCH_EN: 0
; COMPUTE_PGM_RSRC2:USER_SGPR: 2
; COMPUTE_PGM_RSRC2:TRAP_HANDLER: 0
; COMPUTE_PGM_RSRC2:TGID_X_EN: 1
; COMPUTE_PGM_RSRC2:TGID_Y_EN: 0
; COMPUTE_PGM_RSRC2:TGID_Z_EN: 0
; COMPUTE_PGM_RSRC2:TIDIG_COMP_CNT: 0
; COMPUTE_PGM_RSRC3_GFX90A:ACCUM_OFFSET: 2
; COMPUTE_PGM_RSRC3_GFX90A:TG_SPLIT: 0
	.section	.text._Z6kernelI14exclusive_scanILN6hipcub18BlockScanAlgorithmE0EEhLj256ELj3ELj100EEvPKT0_PS4_S4_,"axG",@progbits,_Z6kernelI14exclusive_scanILN6hipcub18BlockScanAlgorithmE0EEhLj256ELj3ELj100EEvPKT0_PS4_S4_,comdat
	.protected	_Z6kernelI14exclusive_scanILN6hipcub18BlockScanAlgorithmE0EEhLj256ELj3ELj100EEvPKT0_PS4_S4_ ; -- Begin function _Z6kernelI14exclusive_scanILN6hipcub18BlockScanAlgorithmE0EEhLj256ELj3ELj100EEvPKT0_PS4_S4_
	.globl	_Z6kernelI14exclusive_scanILN6hipcub18BlockScanAlgorithmE0EEhLj256ELj3ELj100EEvPKT0_PS4_S4_
	.p2align	8
	.type	_Z6kernelI14exclusive_scanILN6hipcub18BlockScanAlgorithmE0EEhLj256ELj3ELj100EEvPKT0_PS4_S4_,@function
_Z6kernelI14exclusive_scanILN6hipcub18BlockScanAlgorithmE0EEhLj256ELj3ELj100EEvPKT0_PS4_S4_: ; @_Z6kernelI14exclusive_scanILN6hipcub18BlockScanAlgorithmE0EEhLj256ELj3ELj100EEvPKT0_PS4_S4_
; %bb.0:
	s_load_dword s3, s[0:1], 0x24
	s_load_dwordx4 s[24:27], s[0:1], 0x0
	s_load_dword s28, s[0:1], 0x10
	v_mov_b32_e32 v3, 0
	v_or_b32_e32 v8, 63, v0
	s_waitcnt lgkmcnt(0)
	s_and_b32 s0, s3, 0xffff
	s_mul_i32 s2, s2, s0
	v_add_u32_e32 v1, s2, v0
	v_lshl_add_u32 v2, v1, 1, v1
	v_add_u32_e32 v4, 1, v2
	global_load_ubyte v10, v4, s[24:25]
	global_load_ubyte v11, v2, s[24:25]
	v_add_u32_e32 v6, 2, v2
	global_load_ubyte v12, v6, s[24:25]
	v_mbcnt_lo_u32_b32 v1, -1, 0
	v_mbcnt_hi_u32_b32 v9, -1, v1
	v_add_u32_e32 v15, -1, v9
	v_and_b32_e32 v16, 64, v9
	v_cmp_lt_i32_e64 s[20:21], v15, v16
	v_lshrrev_b32_e32 v1, 6, v0
	v_and_b32_e32 v13, 15, v9
	v_and_b32_e32 v14, 16, v9
	v_cmp_lt_u32_e64 s[4:5], 31, v9
	v_cmp_eq_u32_e64 s[8:9], 0, v9
	v_and_b32_e32 v17, 3, v9
	v_cndmask_b32_e64 v9, v15, v9, s[20:21]
	s_movk_i32 s29, 0x64
	v_mov_b32_e32 v5, v3
	v_mov_b32_e32 v7, v3
	v_cmp_gt_u32_e32 vcc, 4, v0
	v_cmp_lt_u32_e64 s[0:1], 63, v0
	v_cmp_eq_u32_e64 s[2:3], 0, v0
	v_cmp_eq_u32_e64 s[6:7], v8, v0
	v_add_u32_e32 v8, -1, v1
	v_cmp_eq_u32_e64 s[10:11], 0, v13
	v_cmp_lt_u32_e64 s[12:13], 1, v13
	v_cmp_lt_u32_e64 s[14:15], 3, v13
	;; [unrolled: 1-line block ×3, first 2 shown]
	v_cmp_eq_u32_e64 s[18:19], 0, v14
	v_cmp_eq_u32_e64 s[20:21], 0, v17
	v_cmp_lt_u32_e64 s[22:23], 1, v17
	v_lshlrev_b32_e32 v9, 2, v9
	s_waitcnt vmcnt(2)
	v_lshlrev_b16_e32 v10, 8, v10
	s_waitcnt vmcnt(1)
	v_or_b32_e32 v10, v11, v10
	v_and_b32_e32 v10, 0xffff, v10
	s_waitcnt vmcnt(0)
	v_lshl_or_b32 v11, v12, 16, v10
	v_mov_b32_e32 v10, s28
	s_branch .LBB205_2
.LBB205_1:                              ;   in Loop: Header=BB205_2 Depth=1
	s_or_b64 exec, exec, s[24:25]
	v_add_u16_e32 v13, v14, v13
	v_and_b32_e32 v13, 0xff, v13
	ds_bpermute_b32 v13, v9, v13
	s_add_i32 s29, s29, -1
	s_cmp_lg_u32 s29, 0
	s_waitcnt lgkmcnt(0)
	v_cndmask_b32_e64 v13, v13, v14, s[8:9]
	v_cndmask_b32_e64 v14, v13, v10, s[2:3]
	v_add_u16_e32 v13, v14, v11
	v_add_u16_e32 v12, v13, v12
	v_lshlrev_b16_e32 v11, 8, v13
	v_and_b32_e32 v15, 0xff, v12
	v_or_b32_sdwa v11, v14, v11 dst_sel:DWORD dst_unused:UNUSED_PAD src0_sel:BYTE_0 src1_sel:DWORD
	v_lshlrev_b32_e32 v15, 16, v15
	v_or_b32_sdwa v11, v11, v15 dst_sel:DWORD dst_unused:UNUSED_PAD src0_sel:WORD_0 src1_sel:DWORD
	s_cbranch_scc0 .LBB205_8
.LBB205_2:                              ; =>This Inner Loop Header: Depth=1
	v_lshrrev_b32_e32 v12, 8, v11
	v_add_u16_e32 v13, v12, v11
	v_add_u16_sdwa v13, v13, v11 dst_sel:DWORD dst_unused:UNUSED_PAD src0_sel:DWORD src1_sel:WORD_1
	v_and_b32_e32 v14, 0xff, v13
	s_nop 1
	v_mov_b32_dpp v14, v14 row_shr:1 row_mask:0xf bank_mask:0xf
	v_cndmask_b32_e64 v14, v14, 0, s[10:11]
	v_add_u16_e32 v13, v14, v13
	v_and_b32_e32 v14, 0xff, v13
	s_nop 1
	v_mov_b32_dpp v14, v14 row_shr:2 row_mask:0xf bank_mask:0xf
	v_cndmask_b32_e64 v14, 0, v14, s[12:13]
	v_add_u16_e32 v13, v13, v14
	;; [unrolled: 5-line block ×4, first 2 shown]
	v_and_b32_e32 v14, 0xff, v13
	s_nop 1
	v_mov_b32_dpp v14, v14 row_bcast:15 row_mask:0xf bank_mask:0xf
	v_cndmask_b32_e64 v14, v14, 0, s[18:19]
	v_add_u16_e32 v13, v13, v14
	v_and_b32_e32 v14, 0xff, v13
	s_nop 1
	v_mov_b32_dpp v14, v14 row_bcast:31 row_mask:0xf bank_mask:0xf
	v_cndmask_b32_e64 v14, 0, v14, s[4:5]
	v_add_u16_e32 v13, v13, v14
	s_and_saveexec_b64 s[24:25], s[6:7]
	s_cbranch_execz .LBB205_4
; %bb.3:                                ;   in Loop: Header=BB205_2 Depth=1
	ds_write_b8 v1, v13
.LBB205_4:                              ;   in Loop: Header=BB205_2 Depth=1
	s_or_b64 exec, exec, s[24:25]
	s_waitcnt lgkmcnt(0)
	s_barrier
	s_and_saveexec_b64 s[24:25], vcc
	s_cbranch_execz .LBB205_6
; %bb.5:                                ;   in Loop: Header=BB205_2 Depth=1
	ds_read_u8 v14, v0
	s_waitcnt lgkmcnt(0)
	v_and_b32_e32 v15, 0xff, v14
	s_nop 1
	v_mov_b32_dpp v15, v15 row_shr:1 row_mask:0xf bank_mask:0xf
	v_cndmask_b32_e64 v15, v15, 0, s[20:21]
	v_add_u16_e32 v14, v15, v14
	v_and_b32_e32 v15, 0xff, v14
	s_nop 1
	v_mov_b32_dpp v15, v15 row_shr:2 row_mask:0xf bank_mask:0xf
	v_cndmask_b32_e64 v15, 0, v15, s[22:23]
	v_add_u16_e32 v14, v14, v15
	ds_write_b8 v0, v14
.LBB205_6:                              ;   in Loop: Header=BB205_2 Depth=1
	s_or_b64 exec, exec, s[24:25]
	v_mov_b32_e32 v14, s28
	s_waitcnt lgkmcnt(0)
	s_barrier
	s_and_saveexec_b64 s[24:25], s[0:1]
	s_cbranch_execz .LBB205_1
; %bb.7:                                ;   in Loop: Header=BB205_2 Depth=1
	ds_read_u8 v14, v8
	s_waitcnt lgkmcnt(0)
	v_add_u16_e32 v14, s28, v14
	s_branch .LBB205_1
.LBB205_8:
	v_lshl_add_u64 v[0:1], s[26:27], 0, v[2:3]
	global_store_byte v[0:1], v14, off
	v_lshl_add_u64 v[0:1], s[26:27], 0, v[4:5]
	global_store_byte v[0:1], v13, off
	;; [unrolled: 2-line block ×3, first 2 shown]
	s_endpgm
	.section	.rodata,"a",@progbits
	.p2align	6, 0x0
	.amdhsa_kernel _Z6kernelI14exclusive_scanILN6hipcub18BlockScanAlgorithmE0EEhLj256ELj3ELj100EEvPKT0_PS4_S4_
		.amdhsa_group_segment_fixed_size 4
		.amdhsa_private_segment_fixed_size 0
		.amdhsa_kernarg_size 280
		.amdhsa_user_sgpr_count 2
		.amdhsa_user_sgpr_dispatch_ptr 0
		.amdhsa_user_sgpr_queue_ptr 0
		.amdhsa_user_sgpr_kernarg_segment_ptr 1
		.amdhsa_user_sgpr_dispatch_id 0
		.amdhsa_user_sgpr_kernarg_preload_length 0
		.amdhsa_user_sgpr_kernarg_preload_offset 0
		.amdhsa_user_sgpr_private_segment_size 0
		.amdhsa_uses_dynamic_stack 0
		.amdhsa_enable_private_segment 0
		.amdhsa_system_sgpr_workgroup_id_x 1
		.amdhsa_system_sgpr_workgroup_id_y 0
		.amdhsa_system_sgpr_workgroup_id_z 0
		.amdhsa_system_sgpr_workgroup_info 0
		.amdhsa_system_vgpr_workitem_id 0
		.amdhsa_next_free_vgpr 18
		.amdhsa_next_free_sgpr 30
		.amdhsa_accum_offset 20
		.amdhsa_reserve_vcc 1
		.amdhsa_float_round_mode_32 0
		.amdhsa_float_round_mode_16_64 0
		.amdhsa_float_denorm_mode_32 3
		.amdhsa_float_denorm_mode_16_64 3
		.amdhsa_dx10_clamp 1
		.amdhsa_ieee_mode 1
		.amdhsa_fp16_overflow 0
		.amdhsa_tg_split 0
		.amdhsa_exception_fp_ieee_invalid_op 0
		.amdhsa_exception_fp_denorm_src 0
		.amdhsa_exception_fp_ieee_div_zero 0
		.amdhsa_exception_fp_ieee_overflow 0
		.amdhsa_exception_fp_ieee_underflow 0
		.amdhsa_exception_fp_ieee_inexact 0
		.amdhsa_exception_int_div_zero 0
	.end_amdhsa_kernel
	.section	.text._Z6kernelI14exclusive_scanILN6hipcub18BlockScanAlgorithmE0EEhLj256ELj3ELj100EEvPKT0_PS4_S4_,"axG",@progbits,_Z6kernelI14exclusive_scanILN6hipcub18BlockScanAlgorithmE0EEhLj256ELj3ELj100EEvPKT0_PS4_S4_,comdat
.Lfunc_end205:
	.size	_Z6kernelI14exclusive_scanILN6hipcub18BlockScanAlgorithmE0EEhLj256ELj3ELj100EEvPKT0_PS4_S4_, .Lfunc_end205-_Z6kernelI14exclusive_scanILN6hipcub18BlockScanAlgorithmE0EEhLj256ELj3ELj100EEvPKT0_PS4_S4_
                                        ; -- End function
	.section	.AMDGPU.csdata,"",@progbits
; Kernel info:
; codeLenInByte = 832
; NumSgprs: 36
; NumVgprs: 18
; NumAgprs: 0
; TotalNumVgprs: 18
; ScratchSize: 0
; MemoryBound: 0
; FloatMode: 240
; IeeeMode: 1
; LDSByteSize: 4 bytes/workgroup (compile time only)
; SGPRBlocks: 4
; VGPRBlocks: 2
; NumSGPRsForWavesPerEU: 36
; NumVGPRsForWavesPerEU: 18
; AccumOffset: 20
; Occupancy: 8
; WaveLimiterHint : 0
; COMPUTE_PGM_RSRC2:SCRATCH_EN: 0
; COMPUTE_PGM_RSRC2:USER_SGPR: 2
; COMPUTE_PGM_RSRC2:TRAP_HANDLER: 0
; COMPUTE_PGM_RSRC2:TGID_X_EN: 1
; COMPUTE_PGM_RSRC2:TGID_Y_EN: 0
; COMPUTE_PGM_RSRC2:TGID_Z_EN: 0
; COMPUTE_PGM_RSRC2:TIDIG_COMP_CNT: 0
; COMPUTE_PGM_RSRC3_GFX90A:ACCUM_OFFSET: 4
; COMPUTE_PGM_RSRC3_GFX90A:TG_SPLIT: 0
	.section	.text._Z6kernelI14exclusive_scanILN6hipcub18BlockScanAlgorithmE0EEhLj256ELj4ELj100EEvPKT0_PS4_S4_,"axG",@progbits,_Z6kernelI14exclusive_scanILN6hipcub18BlockScanAlgorithmE0EEhLj256ELj4ELj100EEvPKT0_PS4_S4_,comdat
	.protected	_Z6kernelI14exclusive_scanILN6hipcub18BlockScanAlgorithmE0EEhLj256ELj4ELj100EEvPKT0_PS4_S4_ ; -- Begin function _Z6kernelI14exclusive_scanILN6hipcub18BlockScanAlgorithmE0EEhLj256ELj4ELj100EEvPKT0_PS4_S4_
	.globl	_Z6kernelI14exclusive_scanILN6hipcub18BlockScanAlgorithmE0EEhLj256ELj4ELj100EEvPKT0_PS4_S4_
	.p2align	8
	.type	_Z6kernelI14exclusive_scanILN6hipcub18BlockScanAlgorithmE0EEhLj256ELj4ELj100EEvPKT0_PS4_S4_,@function
_Z6kernelI14exclusive_scanILN6hipcub18BlockScanAlgorithmE0EEhLj256ELj4ELj100EEvPKT0_PS4_S4_: ; @_Z6kernelI14exclusive_scanILN6hipcub18BlockScanAlgorithmE0EEhLj256ELj4ELj100EEvPKT0_PS4_S4_
; %bb.0:
	s_load_dword s3, s[0:1], 0x24
	s_load_dwordx4 s[24:27], s[0:1], 0x0
	s_load_dword s28, s[0:1], 0x10
	v_mbcnt_lo_u32_b32 v4, -1, 0
	v_mbcnt_hi_u32_b32 v6, -1, v4
	s_waitcnt lgkmcnt(0)
	s_and_b32 s0, s3, 0xffff
	s_mul_i32 s2, s2, s0
	v_add_lshl_u32 v2, s2, v0, 2
	global_load_dword v1, v2, s[24:25]
	v_or_b32_e32 v5, 63, v0
	v_and_b32_e32 v4, 15, v6
	v_cmp_eq_u32_e64 s[10:11], v5, v0
	v_add_u32_e32 v5, -1, v6
	v_and_b32_e32 v7, 64, v6
	v_cmp_eq_u32_e32 vcc, 0, v4
	v_cmp_lt_u32_e64 s[0:1], 1, v4
	v_cmp_lt_u32_e64 s[2:3], 3, v4
	;; [unrolled: 1-line block ×3, first 2 shown]
	v_and_b32_e32 v4, 16, v6
	v_cmp_lt_i32_e64 s[16:17], v5, v7
	v_cmp_eq_u32_e64 s[6:7], 0, v4
	v_cmp_lt_u32_e64 s[8:9], 31, v6
	v_lshrrev_b32_e32 v4, 6, v0
	v_cndmask_b32_e64 v5, v5, v6, s[16:17]
	v_cmp_eq_u32_e64 s[16:17], 0, v6
	v_and_b32_e32 v6, 3, v6
	v_mov_b32_e32 v3, 0
	v_cmp_gt_u32_e64 s[12:13], 4, v0
	v_cmp_lt_u32_e64 s[14:15], 63, v0
	v_lshlrev_b32_e32 v5, 2, v5
	v_cmp_eq_u32_e64 s[18:19], 0, v0
	v_cmp_eq_u32_e64 s[20:21], 0, v6
	v_cmp_lt_u32_e64 s[22:23], 1, v6
	v_add_u32_e32 v6, -1, v4
	s_movk_i32 s29, 0x64
	v_mov_b32_e32 v7, s28
	s_branch .LBB206_2
.LBB206_1:                              ;   in Loop: Header=BB206_2 Depth=1
	s_or_b64 exec, exec, s[24:25]
	v_add_u16_e32 v9, v10, v9
	v_and_b32_e32 v9, 0xff, v9
	ds_bpermute_b32 v9, v5, v9
	s_add_i32 s29, s29, -1
	s_cmp_lg_u32 s29, 0
	s_waitcnt lgkmcnt(0)
	v_cndmask_b32_e64 v9, v9, v10, s[16:17]
	v_cndmask_b32_e64 v9, v9, v7, s[18:19]
	v_add_u16_e32 v10, v9, v1
	v_add_u16_e32 v11, v10, v8
	v_add_u16_sdwa v1, v11, v1 dst_sel:DWORD dst_unused:UNUSED_PAD src0_sel:DWORD src1_sel:WORD_1
	v_lshlrev_b16_e32 v8, 8, v10
	v_lshlrev_b16_e32 v1, 8, v1
	v_or_b32_sdwa v8, v9, v8 dst_sel:DWORD dst_unused:UNUSED_PAD src0_sel:BYTE_0 src1_sel:DWORD
	v_or_b32_sdwa v9, v11, v1 dst_sel:WORD_1 dst_unused:UNUSED_PAD src0_sel:BYTE_0 src1_sel:DWORD
	s_nop 0
	v_or_b32_sdwa v1, v8, v9 dst_sel:DWORD dst_unused:UNUSED_PAD src0_sel:WORD_0 src1_sel:DWORD
	s_cbranch_scc0 .LBB206_8
.LBB206_2:                              ; =>This Inner Loop Header: Depth=1
	s_waitcnt vmcnt(0)
	v_lshrrev_b32_e32 v8, 8, v1
	v_add_u16_e32 v9, v8, v1
	v_add_u16_sdwa v9, v9, v1 dst_sel:DWORD dst_unused:UNUSED_PAD src0_sel:DWORD src1_sel:WORD_1
	v_add_u16_sdwa v9, v9, v1 dst_sel:DWORD dst_unused:UNUSED_PAD src0_sel:DWORD src1_sel:BYTE_3
	v_and_b32_e32 v10, 0xff, v9
	s_nop 1
	v_mov_b32_dpp v10, v10 row_shr:1 row_mask:0xf bank_mask:0xf
	v_cndmask_b32_e64 v10, v10, 0, vcc
	v_add_u16_e32 v9, v9, v10
	v_and_b32_e32 v10, 0xff, v9
	s_nop 1
	v_mov_b32_dpp v10, v10 row_shr:2 row_mask:0xf bank_mask:0xf
	v_cndmask_b32_e64 v10, 0, v10, s[0:1]
	v_add_u16_e32 v9, v9, v10
	v_and_b32_e32 v10, 0xff, v9
	s_nop 1
	v_mov_b32_dpp v10, v10 row_shr:4 row_mask:0xf bank_mask:0xf
	v_cndmask_b32_e64 v10, 0, v10, s[2:3]
	;; [unrolled: 5-line block ×3, first 2 shown]
	v_add_u16_e32 v9, v9, v10
	v_and_b32_e32 v10, 0xff, v9
	s_nop 1
	v_mov_b32_dpp v10, v10 row_bcast:15 row_mask:0xf bank_mask:0xf
	v_cndmask_b32_e64 v10, v10, 0, s[6:7]
	v_add_u16_e32 v9, v9, v10
	v_and_b32_e32 v10, 0xff, v9
	s_nop 1
	v_mov_b32_dpp v10, v10 row_bcast:31 row_mask:0xf bank_mask:0xf
	v_cndmask_b32_e64 v10, 0, v10, s[8:9]
	v_add_u16_e32 v9, v9, v10
	s_and_saveexec_b64 s[24:25], s[10:11]
	s_cbranch_execz .LBB206_4
; %bb.3:                                ;   in Loop: Header=BB206_2 Depth=1
	ds_write_b8 v4, v9
.LBB206_4:                              ;   in Loop: Header=BB206_2 Depth=1
	s_or_b64 exec, exec, s[24:25]
	s_waitcnt lgkmcnt(0)
	s_barrier
	s_and_saveexec_b64 s[24:25], s[12:13]
	s_cbranch_execz .LBB206_6
; %bb.5:                                ;   in Loop: Header=BB206_2 Depth=1
	ds_read_u8 v10, v0
	s_waitcnt lgkmcnt(0)
	v_and_b32_e32 v11, 0xff, v10
	s_nop 1
	v_mov_b32_dpp v11, v11 row_shr:1 row_mask:0xf bank_mask:0xf
	v_cndmask_b32_e64 v11, v11, 0, s[20:21]
	v_add_u16_e32 v10, v11, v10
	v_and_b32_e32 v11, 0xff, v10
	s_nop 1
	v_mov_b32_dpp v11, v11 row_shr:2 row_mask:0xf bank_mask:0xf
	v_cndmask_b32_e64 v11, 0, v11, s[22:23]
	v_add_u16_e32 v10, v10, v11
	ds_write_b8 v0, v10
.LBB206_6:                              ;   in Loop: Header=BB206_2 Depth=1
	s_or_b64 exec, exec, s[24:25]
	v_mov_b32_e32 v10, s28
	s_waitcnt lgkmcnt(0)
	s_barrier
	s_and_saveexec_b64 s[24:25], s[14:15]
	s_cbranch_execz .LBB206_1
; %bb.7:                                ;   in Loop: Header=BB206_2 Depth=1
	ds_read_u8 v10, v6
	s_waitcnt lgkmcnt(0)
	v_add_u16_e32 v10, s28, v10
	s_branch .LBB206_1
.LBB206_8:
	v_lshl_add_u64 v[0:1], s[26:27], 0, v[2:3]
	v_or_b32_sdwa v2, v8, v9 dst_sel:DWORD dst_unused:UNUSED_PAD src0_sel:WORD_0 src1_sel:DWORD
	global_store_dword v[0:1], v2, off
	s_endpgm
	.section	.rodata,"a",@progbits
	.p2align	6, 0x0
	.amdhsa_kernel _Z6kernelI14exclusive_scanILN6hipcub18BlockScanAlgorithmE0EEhLj256ELj4ELj100EEvPKT0_PS4_S4_
		.amdhsa_group_segment_fixed_size 4
		.amdhsa_private_segment_fixed_size 0
		.amdhsa_kernarg_size 280
		.amdhsa_user_sgpr_count 2
		.amdhsa_user_sgpr_dispatch_ptr 0
		.amdhsa_user_sgpr_queue_ptr 0
		.amdhsa_user_sgpr_kernarg_segment_ptr 1
		.amdhsa_user_sgpr_dispatch_id 0
		.amdhsa_user_sgpr_kernarg_preload_length 0
		.amdhsa_user_sgpr_kernarg_preload_offset 0
		.amdhsa_user_sgpr_private_segment_size 0
		.amdhsa_uses_dynamic_stack 0
		.amdhsa_enable_private_segment 0
		.amdhsa_system_sgpr_workgroup_id_x 1
		.amdhsa_system_sgpr_workgroup_id_y 0
		.amdhsa_system_sgpr_workgroup_id_z 0
		.amdhsa_system_sgpr_workgroup_info 0
		.amdhsa_system_vgpr_workitem_id 0
		.amdhsa_next_free_vgpr 12
		.amdhsa_next_free_sgpr 30
		.amdhsa_accum_offset 12
		.amdhsa_reserve_vcc 1
		.amdhsa_float_round_mode_32 0
		.amdhsa_float_round_mode_16_64 0
		.amdhsa_float_denorm_mode_32 3
		.amdhsa_float_denorm_mode_16_64 3
		.amdhsa_dx10_clamp 1
		.amdhsa_ieee_mode 1
		.amdhsa_fp16_overflow 0
		.amdhsa_tg_split 0
		.amdhsa_exception_fp_ieee_invalid_op 0
		.amdhsa_exception_fp_denorm_src 0
		.amdhsa_exception_fp_ieee_div_zero 0
		.amdhsa_exception_fp_ieee_overflow 0
		.amdhsa_exception_fp_ieee_underflow 0
		.amdhsa_exception_fp_ieee_inexact 0
		.amdhsa_exception_int_div_zero 0
	.end_amdhsa_kernel
	.section	.text._Z6kernelI14exclusive_scanILN6hipcub18BlockScanAlgorithmE0EEhLj256ELj4ELj100EEvPKT0_PS4_S4_,"axG",@progbits,_Z6kernelI14exclusive_scanILN6hipcub18BlockScanAlgorithmE0EEhLj256ELj4ELj100EEvPKT0_PS4_S4_,comdat
.Lfunc_end206:
	.size	_Z6kernelI14exclusive_scanILN6hipcub18BlockScanAlgorithmE0EEhLj256ELj4ELj100EEvPKT0_PS4_S4_, .Lfunc_end206-_Z6kernelI14exclusive_scanILN6hipcub18BlockScanAlgorithmE0EEhLj256ELj4ELj100EEvPKT0_PS4_S4_
                                        ; -- End function
	.section	.AMDGPU.csdata,"",@progbits
; Kernel info:
; codeLenInByte = 760
; NumSgprs: 36
; NumVgprs: 12
; NumAgprs: 0
; TotalNumVgprs: 12
; ScratchSize: 0
; MemoryBound: 0
; FloatMode: 240
; IeeeMode: 1
; LDSByteSize: 4 bytes/workgroup (compile time only)
; SGPRBlocks: 4
; VGPRBlocks: 1
; NumSGPRsForWavesPerEU: 36
; NumVGPRsForWavesPerEU: 12
; AccumOffset: 12
; Occupancy: 8
; WaveLimiterHint : 0
; COMPUTE_PGM_RSRC2:SCRATCH_EN: 0
; COMPUTE_PGM_RSRC2:USER_SGPR: 2
; COMPUTE_PGM_RSRC2:TRAP_HANDLER: 0
; COMPUTE_PGM_RSRC2:TGID_X_EN: 1
; COMPUTE_PGM_RSRC2:TGID_Y_EN: 0
; COMPUTE_PGM_RSRC2:TGID_Z_EN: 0
; COMPUTE_PGM_RSRC2:TIDIG_COMP_CNT: 0
; COMPUTE_PGM_RSRC3_GFX90A:ACCUM_OFFSET: 2
; COMPUTE_PGM_RSRC3_GFX90A:TG_SPLIT: 0
	.section	.text._Z6kernelI14exclusive_scanILN6hipcub18BlockScanAlgorithmE0EEhLj256ELj8ELj100EEvPKT0_PS4_S4_,"axG",@progbits,_Z6kernelI14exclusive_scanILN6hipcub18BlockScanAlgorithmE0EEhLj256ELj8ELj100EEvPKT0_PS4_S4_,comdat
	.protected	_Z6kernelI14exclusive_scanILN6hipcub18BlockScanAlgorithmE0EEhLj256ELj8ELj100EEvPKT0_PS4_S4_ ; -- Begin function _Z6kernelI14exclusive_scanILN6hipcub18BlockScanAlgorithmE0EEhLj256ELj8ELj100EEvPKT0_PS4_S4_
	.globl	_Z6kernelI14exclusive_scanILN6hipcub18BlockScanAlgorithmE0EEhLj256ELj8ELj100EEvPKT0_PS4_S4_
	.p2align	8
	.type	_Z6kernelI14exclusive_scanILN6hipcub18BlockScanAlgorithmE0EEhLj256ELj8ELj100EEvPKT0_PS4_S4_,@function
_Z6kernelI14exclusive_scanILN6hipcub18BlockScanAlgorithmE0EEhLj256ELj8ELj100EEvPKT0_PS4_S4_: ; @_Z6kernelI14exclusive_scanILN6hipcub18BlockScanAlgorithmE0EEhLj256ELj8ELj100EEvPKT0_PS4_S4_
; %bb.0:
	s_load_dword s3, s[0:1], 0x24
	s_load_dwordx4 s[24:27], s[0:1], 0x0
	s_load_dword s28, s[0:1], 0x10
	v_mbcnt_lo_u32_b32 v1, -1, 0
	v_mbcnt_hi_u32_b32 v7, -1, v1
	s_waitcnt lgkmcnt(0)
	s_and_b32 s0, s3, 0xffff
	s_mul_i32 s2, s2, s0
	v_add_lshl_u32 v2, s2, v0, 3
	global_load_dwordx2 v[4:5], v2, s[24:25]
	v_or_b32_e32 v6, 63, v0
	v_and_b32_e32 v1, 15, v7
	v_cmp_eq_u32_e64 s[10:11], v6, v0
	v_add_u32_e32 v6, -1, v7
	v_and_b32_e32 v8, 64, v7
	v_cmp_eq_u32_e32 vcc, 0, v1
	v_cmp_lt_u32_e64 s[0:1], 1, v1
	v_cmp_lt_u32_e64 s[2:3], 3, v1
	;; [unrolled: 1-line block ×3, first 2 shown]
	v_and_b32_e32 v1, 16, v7
	v_cmp_lt_i32_e64 s[16:17], v6, v8
	v_cmp_eq_u32_e64 s[6:7], 0, v1
	v_cmp_lt_u32_e64 s[8:9], 31, v7
	v_lshrrev_b32_e32 v1, 6, v0
	v_cndmask_b32_e64 v6, v6, v7, s[16:17]
	v_cmp_eq_u32_e64 s[16:17], 0, v7
	v_and_b32_e32 v7, 3, v7
	v_mov_b32_e32 v3, 0
	v_cmp_gt_u32_e64 s[12:13], 4, v0
	v_cmp_lt_u32_e64 s[14:15], 63, v0
	v_lshlrev_b32_e32 v6, 2, v6
	v_cmp_eq_u32_e64 s[18:19], 0, v0
	v_cmp_eq_u32_e64 s[20:21], 0, v7
	v_cmp_lt_u32_e64 s[22:23], 1, v7
	v_add_u32_e32 v7, -1, v1
	s_movk_i32 s29, 0x64
	v_mov_b32_e32 v8, s28
	s_branch .LBB207_2
.LBB207_1:                              ;   in Loop: Header=BB207_2 Depth=1
	s_or_b64 exec, exec, s[24:25]
	v_add_u16_e32 v11, v12, v11
	v_and_b32_e32 v11, 0xff, v11
	ds_bpermute_b32 v11, v6, v11
	s_add_i32 s29, s29, -1
	s_cmp_lg_u32 s29, 0
	s_waitcnt lgkmcnt(0)
	v_cndmask_b32_e64 v11, v11, v12, s[16:17]
	v_cndmask_b32_e64 v11, v11, v8, s[18:19]
	v_add_u16_e32 v12, v11, v4
	v_add_u16_e32 v13, v12, v10
	v_lshlrev_b16_e32 v10, 8, v12
	v_add_u16_sdwa v12, v13, v4 dst_sel:DWORD dst_unused:UNUSED_PAD src0_sel:DWORD src1_sel:WORD_1
	v_add_u16_sdwa v14, v12, v4 dst_sel:DWORD dst_unused:UNUSED_PAD src0_sel:DWORD src1_sel:BYTE_3
	v_lshlrev_b16_e32 v4, 8, v12
	v_add_u16_e32 v12, v14, v5
	v_or_b32_sdwa v10, v11, v10 dst_sel:DWORD dst_unused:UNUSED_PAD src0_sel:BYTE_0 src1_sel:DWORD
	v_or_b32_sdwa v11, v13, v4 dst_sel:WORD_1 dst_unused:UNUSED_PAD src0_sel:BYTE_0 src1_sel:DWORD
	v_add_u16_e32 v13, v12, v9
	v_add_u16_sdwa v5, v13, v5 dst_sel:DWORD dst_unused:UNUSED_PAD src0_sel:DWORD src1_sel:WORD_1
	v_lshlrev_b16_e32 v9, 8, v12
	v_lshlrev_b16_e32 v5, 8, v5
	v_or_b32_sdwa v9, v14, v9 dst_sel:DWORD dst_unused:UNUSED_PAD src0_sel:BYTE_0 src1_sel:DWORD
	v_or_b32_sdwa v12, v13, v5 dst_sel:WORD_1 dst_unused:UNUSED_PAD src0_sel:BYTE_0 src1_sel:DWORD
	v_or_b32_sdwa v4, v10, v11 dst_sel:DWORD dst_unused:UNUSED_PAD src0_sel:WORD_0 src1_sel:DWORD
	v_or_b32_sdwa v5, v9, v12 dst_sel:DWORD dst_unused:UNUSED_PAD src0_sel:WORD_0 src1_sel:DWORD
	s_cbranch_scc0 .LBB207_8
.LBB207_2:                              ; =>This Inner Loop Header: Depth=1
	s_waitcnt vmcnt(0)
	v_lshrrev_b32_e32 v10, 8, v4
	v_add_u16_e32 v11, v10, v4
	v_add_u16_sdwa v11, v11, v4 dst_sel:DWORD dst_unused:UNUSED_PAD src0_sel:DWORD src1_sel:WORD_1
	v_add_u16_sdwa v11, v11, v4 dst_sel:DWORD dst_unused:UNUSED_PAD src0_sel:DWORD src1_sel:BYTE_3
	v_lshrrev_b32_e32 v9, 8, v5
	v_add_u16_e32 v11, v11, v5
	v_add_u16_e32 v11, v11, v9
	v_add_u16_sdwa v11, v11, v5 dst_sel:DWORD dst_unused:UNUSED_PAD src0_sel:DWORD src1_sel:WORD_1
	v_add_u16_sdwa v11, v11, v5 dst_sel:DWORD dst_unused:UNUSED_PAD src0_sel:DWORD src1_sel:BYTE_3
	v_and_b32_e32 v12, 0xff, v11
	s_nop 1
	v_mov_b32_dpp v12, v12 row_shr:1 row_mask:0xf bank_mask:0xf
	v_cndmask_b32_e64 v12, v12, 0, vcc
	v_add_u16_e32 v11, v11, v12
	v_and_b32_e32 v12, 0xff, v11
	s_nop 1
	v_mov_b32_dpp v12, v12 row_shr:2 row_mask:0xf bank_mask:0xf
	v_cndmask_b32_e64 v12, 0, v12, s[0:1]
	v_add_u16_e32 v11, v11, v12
	v_and_b32_e32 v12, 0xff, v11
	s_nop 1
	v_mov_b32_dpp v12, v12 row_shr:4 row_mask:0xf bank_mask:0xf
	v_cndmask_b32_e64 v12, 0, v12, s[2:3]
	;; [unrolled: 5-line block ×3, first 2 shown]
	v_add_u16_e32 v11, v11, v12
	v_and_b32_e32 v12, 0xff, v11
	s_nop 1
	v_mov_b32_dpp v12, v12 row_bcast:15 row_mask:0xf bank_mask:0xf
	v_cndmask_b32_e64 v12, v12, 0, s[6:7]
	v_add_u16_e32 v11, v11, v12
	v_and_b32_e32 v12, 0xff, v11
	s_nop 1
	v_mov_b32_dpp v12, v12 row_bcast:31 row_mask:0xf bank_mask:0xf
	v_cndmask_b32_e64 v12, 0, v12, s[8:9]
	v_add_u16_e32 v11, v11, v12
	s_and_saveexec_b64 s[24:25], s[10:11]
	s_cbranch_execz .LBB207_4
; %bb.3:                                ;   in Loop: Header=BB207_2 Depth=1
	ds_write_b8 v1, v11
.LBB207_4:                              ;   in Loop: Header=BB207_2 Depth=1
	s_or_b64 exec, exec, s[24:25]
	s_waitcnt lgkmcnt(0)
	s_barrier
	s_and_saveexec_b64 s[24:25], s[12:13]
	s_cbranch_execz .LBB207_6
; %bb.5:                                ;   in Loop: Header=BB207_2 Depth=1
	ds_read_u8 v12, v0
	s_waitcnt lgkmcnt(0)
	v_and_b32_e32 v13, 0xff, v12
	s_nop 1
	v_mov_b32_dpp v13, v13 row_shr:1 row_mask:0xf bank_mask:0xf
	v_cndmask_b32_e64 v13, v13, 0, s[20:21]
	v_add_u16_e32 v12, v13, v12
	v_and_b32_e32 v13, 0xff, v12
	s_nop 1
	v_mov_b32_dpp v13, v13 row_shr:2 row_mask:0xf bank_mask:0xf
	v_cndmask_b32_e64 v13, 0, v13, s[22:23]
	v_add_u16_e32 v12, v12, v13
	ds_write_b8 v0, v12
.LBB207_6:                              ;   in Loop: Header=BB207_2 Depth=1
	s_or_b64 exec, exec, s[24:25]
	v_mov_b32_e32 v12, s28
	s_waitcnt lgkmcnt(0)
	s_barrier
	s_and_saveexec_b64 s[24:25], s[14:15]
	s_cbranch_execz .LBB207_1
; %bb.7:                                ;   in Loop: Header=BB207_2 Depth=1
	ds_read_u8 v12, v7
	s_waitcnt lgkmcnt(0)
	v_add_u16_e32 v12, s28, v12
	s_branch .LBB207_1
.LBB207_8:
	v_lshl_add_u64 v[0:1], s[26:27], 0, v[2:3]
	v_or_b32_sdwa v3, v9, v12 dst_sel:DWORD dst_unused:UNUSED_PAD src0_sel:WORD_0 src1_sel:DWORD
	v_or_b32_sdwa v2, v10, v11 dst_sel:DWORD dst_unused:UNUSED_PAD src0_sel:WORD_0 src1_sel:DWORD
	global_store_dwordx2 v[0:1], v[2:3], off
	s_endpgm
	.section	.rodata,"a",@progbits
	.p2align	6, 0x0
	.amdhsa_kernel _Z6kernelI14exclusive_scanILN6hipcub18BlockScanAlgorithmE0EEhLj256ELj8ELj100EEvPKT0_PS4_S4_
		.amdhsa_group_segment_fixed_size 4
		.amdhsa_private_segment_fixed_size 0
		.amdhsa_kernarg_size 280
		.amdhsa_user_sgpr_count 2
		.amdhsa_user_sgpr_dispatch_ptr 0
		.amdhsa_user_sgpr_queue_ptr 0
		.amdhsa_user_sgpr_kernarg_segment_ptr 1
		.amdhsa_user_sgpr_dispatch_id 0
		.amdhsa_user_sgpr_kernarg_preload_length 0
		.amdhsa_user_sgpr_kernarg_preload_offset 0
		.amdhsa_user_sgpr_private_segment_size 0
		.amdhsa_uses_dynamic_stack 0
		.amdhsa_enable_private_segment 0
		.amdhsa_system_sgpr_workgroup_id_x 1
		.amdhsa_system_sgpr_workgroup_id_y 0
		.amdhsa_system_sgpr_workgroup_id_z 0
		.amdhsa_system_sgpr_workgroup_info 0
		.amdhsa_system_vgpr_workitem_id 0
		.amdhsa_next_free_vgpr 15
		.amdhsa_next_free_sgpr 30
		.amdhsa_accum_offset 16
		.amdhsa_reserve_vcc 1
		.amdhsa_float_round_mode_32 0
		.amdhsa_float_round_mode_16_64 0
		.amdhsa_float_denorm_mode_32 3
		.amdhsa_float_denorm_mode_16_64 3
		.amdhsa_dx10_clamp 1
		.amdhsa_ieee_mode 1
		.amdhsa_fp16_overflow 0
		.amdhsa_tg_split 0
		.amdhsa_exception_fp_ieee_invalid_op 0
		.amdhsa_exception_fp_denorm_src 0
		.amdhsa_exception_fp_ieee_div_zero 0
		.amdhsa_exception_fp_ieee_overflow 0
		.amdhsa_exception_fp_ieee_underflow 0
		.amdhsa_exception_fp_ieee_inexact 0
		.amdhsa_exception_int_div_zero 0
	.end_amdhsa_kernel
	.section	.text._Z6kernelI14exclusive_scanILN6hipcub18BlockScanAlgorithmE0EEhLj256ELj8ELj100EEvPKT0_PS4_S4_,"axG",@progbits,_Z6kernelI14exclusive_scanILN6hipcub18BlockScanAlgorithmE0EEhLj256ELj8ELj100EEvPKT0_PS4_S4_,comdat
.Lfunc_end207:
	.size	_Z6kernelI14exclusive_scanILN6hipcub18BlockScanAlgorithmE0EEhLj256ELj8ELj100EEvPKT0_PS4_S4_, .Lfunc_end207-_Z6kernelI14exclusive_scanILN6hipcub18BlockScanAlgorithmE0EEhLj256ELj8ELj100EEvPKT0_PS4_S4_
                                        ; -- End function
	.section	.AMDGPU.csdata,"",@progbits
; Kernel info:
; codeLenInByte = 848
; NumSgprs: 36
; NumVgprs: 15
; NumAgprs: 0
; TotalNumVgprs: 15
; ScratchSize: 0
; MemoryBound: 0
; FloatMode: 240
; IeeeMode: 1
; LDSByteSize: 4 bytes/workgroup (compile time only)
; SGPRBlocks: 4
; VGPRBlocks: 1
; NumSGPRsForWavesPerEU: 36
; NumVGPRsForWavesPerEU: 15
; AccumOffset: 16
; Occupancy: 8
; WaveLimiterHint : 0
; COMPUTE_PGM_RSRC2:SCRATCH_EN: 0
; COMPUTE_PGM_RSRC2:USER_SGPR: 2
; COMPUTE_PGM_RSRC2:TRAP_HANDLER: 0
; COMPUTE_PGM_RSRC2:TGID_X_EN: 1
; COMPUTE_PGM_RSRC2:TGID_Y_EN: 0
; COMPUTE_PGM_RSRC2:TGID_Z_EN: 0
; COMPUTE_PGM_RSRC2:TIDIG_COMP_CNT: 0
; COMPUTE_PGM_RSRC3_GFX90A:ACCUM_OFFSET: 3
; COMPUTE_PGM_RSRC3_GFX90A:TG_SPLIT: 0
	.section	.text._Z6kernelI14exclusive_scanILN6hipcub18BlockScanAlgorithmE0EEhLj256ELj11ELj100EEvPKT0_PS4_S4_,"axG",@progbits,_Z6kernelI14exclusive_scanILN6hipcub18BlockScanAlgorithmE0EEhLj256ELj11ELj100EEvPKT0_PS4_S4_,comdat
	.protected	_Z6kernelI14exclusive_scanILN6hipcub18BlockScanAlgorithmE0EEhLj256ELj11ELj100EEvPKT0_PS4_S4_ ; -- Begin function _Z6kernelI14exclusive_scanILN6hipcub18BlockScanAlgorithmE0EEhLj256ELj11ELj100EEvPKT0_PS4_S4_
	.globl	_Z6kernelI14exclusive_scanILN6hipcub18BlockScanAlgorithmE0EEhLj256ELj11ELj100EEvPKT0_PS4_S4_
	.p2align	8
	.type	_Z6kernelI14exclusive_scanILN6hipcub18BlockScanAlgorithmE0EEhLj256ELj11ELj100EEvPKT0_PS4_S4_,@function
_Z6kernelI14exclusive_scanILN6hipcub18BlockScanAlgorithmE0EEhLj256ELj11ELj100EEvPKT0_PS4_S4_: ; @_Z6kernelI14exclusive_scanILN6hipcub18BlockScanAlgorithmE0EEhLj256ELj11ELj100EEvPKT0_PS4_S4_
; %bb.0:
	s_load_dword s3, s[0:1], 0x24
	s_load_dwordx4 s[24:27], s[0:1], 0x0
	s_load_dword s28, s[0:1], 0x10
	v_mbcnt_lo_u32_b32 v25, -1, 0
	v_mbcnt_hi_u32_b32 v27, -1, v25
	s_waitcnt lgkmcnt(0)
	s_and_b32 s0, s3, 0xffff
	s_mul_i32 s2, s2, s0
	v_add_u32_e32 v1, s2, v0
	v_mul_lo_u32 v2, v1, 11
	v_add_u32_e32 v6, 3, v2
	v_add_u32_e32 v4, 1, v2
	global_load_ubyte v29, v2, s[24:25]
	global_load_ubyte v30, v4, s[24:25]
	v_add_u32_e32 v8, 4, v2
	v_add_u32_e32 v10, 5, v2
	;; [unrolled: 1-line block ×4, first 2 shown]
	global_load_ubyte v31, v6, s[24:25]
	global_load_ubyte v32, v8, s[24:25]
	;; [unrolled: 1-line block ×5, first 2 shown]
	v_add_u32_e32 v22, 2, v2
	global_load_ubyte v36, v22, s[24:25]
	v_add_u32_e32 v16, 8, v2
	v_add_u32_e32 v18, 9, v2
	;; [unrolled: 1-line block ×3, first 2 shown]
	global_load_ubyte v1, v16, s[24:25]
	global_load_ubyte v24, v18, s[24:25]
	global_load_ubyte v28, v20, s[24:25]
	v_add_u32_e32 v39, -1, v27
	v_and_b32_e32 v40, 64, v27
	v_cmp_lt_i32_e64 s[20:21], v39, v40
	v_mov_b32_e32 v3, 0
	v_lshrrev_b32_e32 v25, 6, v0
	v_or_b32_e32 v26, 63, v0
	v_and_b32_e32 v37, 15, v27
	v_and_b32_e32 v38, 16, v27
	v_cmp_lt_u32_e64 s[4:5], 31, v27
	v_cmp_eq_u32_e64 s[8:9], 0, v27
	v_and_b32_e32 v41, 3, v27
	v_cndmask_b32_e64 v27, v39, v27, s[20:21]
	v_mov_b32_e32 v5, v3
	v_mov_b32_e32 v23, v3
	;; [unrolled: 1-line block ×10, first 2 shown]
	v_cmp_gt_u32_e32 vcc, 4, v0
	v_cmp_lt_u32_e64 s[0:1], 63, v0
	v_cmp_eq_u32_e64 s[2:3], 0, v0
	v_cmp_eq_u32_e64 s[6:7], v26, v0
	v_add_u32_e32 v26, -1, v25
	v_cmp_eq_u32_e64 s[10:11], 0, v37
	v_cmp_lt_u32_e64 s[12:13], 1, v37
	v_cmp_lt_u32_e64 s[14:15], 3, v37
	;; [unrolled: 1-line block ×3, first 2 shown]
	v_cmp_eq_u32_e64 s[18:19], 0, v38
	v_cmp_eq_u32_e64 s[20:21], 0, v41
	v_cmp_lt_u32_e64 s[22:23], 1, v41
	v_lshlrev_b32_e32 v27, 2, v27
	s_movk_i32 s29, 0x64
	s_waitcnt vmcnt(9)
	v_lshlrev_b16_e32 v30, 8, v30
	s_waitcnt vmcnt(8)
	v_lshlrev_b16_e32 v31, 8, v31
	v_or_b32_e32 v29, v29, v30
	s_waitcnt vmcnt(6)
	v_lshlrev_b16_e32 v33, 8, v33
	s_waitcnt vmcnt(4)
	v_lshlrev_b16_e32 v35, 8, v35
	s_waitcnt vmcnt(3)
	v_or_b32_sdwa v30, v36, v31 dst_sel:WORD_1 dst_unused:UNUSED_PAD src0_sel:DWORD src1_sel:DWORD
	v_or_b32_e32 v31, v32, v33
	v_or_b32_sdwa v32, v34, v35 dst_sel:WORD_1 dst_unused:UNUSED_PAD src0_sel:DWORD src1_sel:DWORD
	v_or_b32_sdwa v29, v29, v30 dst_sel:DWORD dst_unused:UNUSED_PAD src0_sel:WORD_0 src1_sel:DWORD
	v_or_b32_sdwa v30, v31, v32 dst_sel:DWORD dst_unused:UNUSED_PAD src0_sel:WORD_0 src1_sel:DWORD
.LBB208_1:                              ; =>This Inner Loop Header: Depth=1
	v_lshrrev_b32_e32 v32, 8, v29
	v_add_u16_e32 v33, v32, v29
	v_add_u16_sdwa v33, v33, v29 dst_sel:DWORD dst_unused:UNUSED_PAD src0_sel:DWORD src1_sel:WORD_1
	v_add_u16_sdwa v33, v33, v29 dst_sel:DWORD dst_unused:UNUSED_PAD src0_sel:DWORD src1_sel:BYTE_3
	v_lshrrev_b32_e32 v31, 8, v30
	v_add_u16_e32 v33, v33, v30
	v_add_u16_e32 v33, v33, v31
	v_add_u16_sdwa v33, v33, v30 dst_sel:DWORD dst_unused:UNUSED_PAD src0_sel:DWORD src1_sel:WORD_1
	v_add_u16_sdwa v33, v33, v30 dst_sel:DWORD dst_unused:UNUSED_PAD src0_sel:DWORD src1_sel:BYTE_3
	s_waitcnt vmcnt(2)
	v_add_u16_e32 v33, v33, v1
	s_waitcnt vmcnt(1)
	v_add_u16_e32 v33, v33, v24
	;; [unrolled: 2-line block ×3, first 2 shown]
	v_and_b32_e32 v33, 0xff, v28
	s_nop 1
	v_mov_b32_dpp v33, v33 row_shr:1 row_mask:0xf bank_mask:0xf
	v_cndmask_b32_e64 v33, v33, 0, s[10:11]
	v_add_u16_e32 v28, v28, v33
	v_and_b32_e32 v33, 0xff, v28
	s_nop 1
	v_mov_b32_dpp v33, v33 row_shr:2 row_mask:0xf bank_mask:0xf
	v_cndmask_b32_e64 v33, 0, v33, s[12:13]
	v_add_u16_e32 v28, v28, v33
	;; [unrolled: 5-line block ×4, first 2 shown]
	v_and_b32_e32 v33, 0xff, v28
	s_nop 1
	v_mov_b32_dpp v33, v33 row_bcast:15 row_mask:0xf bank_mask:0xf
	v_cndmask_b32_e64 v33, v33, 0, s[18:19]
	v_add_u16_e32 v28, v28, v33
	v_and_b32_e32 v33, 0xff, v28
	s_nop 1
	v_mov_b32_dpp v33, v33 row_bcast:31 row_mask:0xf bank_mask:0xf
	v_cndmask_b32_e64 v33, 0, v33, s[4:5]
	v_add_u16_e32 v28, v28, v33
	s_and_saveexec_b64 s[24:25], s[6:7]
	s_cbranch_execz .LBB208_3
; %bb.2:                                ;   in Loop: Header=BB208_1 Depth=1
	ds_write_b8 v25, v28
.LBB208_3:                              ;   in Loop: Header=BB208_1 Depth=1
	s_or_b64 exec, exec, s[24:25]
	s_waitcnt lgkmcnt(0)
	s_barrier
	s_and_saveexec_b64 s[24:25], vcc
	s_cbranch_execz .LBB208_5
; %bb.4:                                ;   in Loop: Header=BB208_1 Depth=1
	ds_read_u8 v33, v0
	s_waitcnt lgkmcnt(0)
	v_and_b32_e32 v34, 0xff, v33
	s_nop 1
	v_mov_b32_dpp v34, v34 row_shr:1 row_mask:0xf bank_mask:0xf
	v_cndmask_b32_e64 v34, v34, 0, s[20:21]
	v_add_u16_e32 v33, v34, v33
	v_and_b32_e32 v34, 0xff, v33
	s_nop 1
	v_mov_b32_dpp v34, v34 row_shr:2 row_mask:0xf bank_mask:0xf
	v_cndmask_b32_e64 v34, 0, v34, s[22:23]
	v_add_u16_e32 v33, v33, v34
	ds_write_b8 v0, v33
.LBB208_5:                              ;   in Loop: Header=BB208_1 Depth=1
	s_or_b64 exec, exec, s[24:25]
	v_mov_b32_e32 v33, s28
	s_waitcnt lgkmcnt(0)
	s_barrier
	s_and_saveexec_b64 s[24:25], s[0:1]
	s_cbranch_execz .LBB208_7
; %bb.6:                                ;   in Loop: Header=BB208_1 Depth=1
	ds_read_u8 v33, v26
	s_waitcnt lgkmcnt(0)
	v_add_u16_e32 v33, s28, v33
.LBB208_7:                              ;   in Loop: Header=BB208_1 Depth=1
	s_or_b64 exec, exec, s[24:25]
	v_add_u16_e32 v28, v33, v28
	v_and_b32_e32 v28, 0xff, v28
	ds_bpermute_b32 v28, v27, v28
	v_mov_b32_e32 v34, s28
	s_add_i32 s29, s29, -1
	s_cmp_lg_u32 s29, 0
	s_waitcnt lgkmcnt(0)
	v_cndmask_b32_e64 v28, v28, v33, s[8:9]
	v_cndmask_b32_e64 v35, v28, v34, s[2:3]
	v_add_u16_e32 v34, v35, v29
	v_add_u16_e32 v32, v34, v32
	v_add_u16_sdwa v38, v32, v29 dst_sel:DWORD dst_unused:UNUSED_PAD src0_sel:DWORD src1_sel:WORD_1
	v_add_u16_sdwa v39, v38, v29 dst_sel:DWORD dst_unused:UNUSED_PAD src0_sel:DWORD src1_sel:BYTE_3
	v_add_u16_e32 v40, v39, v30
	v_add_u16_e32 v37, v40, v31
	v_add_u16_sdwa v36, v37, v30 dst_sel:DWORD dst_unused:UNUSED_PAD src0_sel:DWORD src1_sel:WORD_1
	v_lshlrev_b16_e32 v28, 8, v34
	v_lshlrev_b16_e32 v29, 8, v38
	v_add_u16_sdwa v33, v36, v30 dst_sel:DWORD dst_unused:UNUSED_PAD src0_sel:DWORD src1_sel:BYTE_3
	v_or_b32_sdwa v41, v35, v28 dst_sel:DWORD dst_unused:UNUSED_PAD src0_sel:BYTE_0 src1_sel:DWORD
	v_add_u16_e32 v31, v33, v1
	v_or_b32_sdwa v1, v32, v29 dst_sel:WORD_1 dst_unused:UNUSED_PAD src0_sel:BYTE_0 src1_sel:DWORD
	v_add_u16_e32 v28, v31, v24
	v_or_b32_sdwa v29, v41, v1 dst_sel:DWORD dst_unused:UNUSED_PAD src0_sel:WORD_0 src1_sel:DWORD
	v_lshlrev_b16_e32 v1, 8, v40
	v_lshlrev_b16_e32 v24, 8, v36
	v_or_b32_sdwa v1, v39, v1 dst_sel:DWORD dst_unused:UNUSED_PAD src0_sel:BYTE_0 src1_sel:DWORD
	v_or_b32_sdwa v24, v37, v24 dst_sel:WORD_1 dst_unused:UNUSED_PAD src0_sel:BYTE_0 src1_sel:DWORD
	s_nop 0
	v_or_b32_sdwa v30, v1, v24 dst_sel:DWORD dst_unused:UNUSED_PAD src0_sel:WORD_0 src1_sel:DWORD
	s_cbranch_scc0 .LBB208_9
; %bb.8:                                ;   in Loop: Header=BB208_1 Depth=1
	v_mov_b32_e32 v1, v33
	v_mov_b32_e32 v24, v31
	s_branch .LBB208_1
.LBB208_9:
	v_lshl_add_u64 v[0:1], s[26:27], 0, v[2:3]
	global_store_byte v[0:1], v35, off
	v_lshl_add_u64 v[0:1], s[26:27], 0, v[4:5]
	global_store_byte v[0:1], v34, off
	;; [unrolled: 2-line block ×11, first 2 shown]
	s_endpgm
	.section	.rodata,"a",@progbits
	.p2align	6, 0x0
	.amdhsa_kernel _Z6kernelI14exclusive_scanILN6hipcub18BlockScanAlgorithmE0EEhLj256ELj11ELj100EEvPKT0_PS4_S4_
		.amdhsa_group_segment_fixed_size 4
		.amdhsa_private_segment_fixed_size 0
		.amdhsa_kernarg_size 280
		.amdhsa_user_sgpr_count 2
		.amdhsa_user_sgpr_dispatch_ptr 0
		.amdhsa_user_sgpr_queue_ptr 0
		.amdhsa_user_sgpr_kernarg_segment_ptr 1
		.amdhsa_user_sgpr_dispatch_id 0
		.amdhsa_user_sgpr_kernarg_preload_length 0
		.amdhsa_user_sgpr_kernarg_preload_offset 0
		.amdhsa_user_sgpr_private_segment_size 0
		.amdhsa_uses_dynamic_stack 0
		.amdhsa_enable_private_segment 0
		.amdhsa_system_sgpr_workgroup_id_x 1
		.amdhsa_system_sgpr_workgroup_id_y 0
		.amdhsa_system_sgpr_workgroup_id_z 0
		.amdhsa_system_sgpr_workgroup_info 0
		.amdhsa_system_vgpr_workitem_id 0
		.amdhsa_next_free_vgpr 42
		.amdhsa_next_free_sgpr 30
		.amdhsa_accum_offset 44
		.amdhsa_reserve_vcc 1
		.amdhsa_float_round_mode_32 0
		.amdhsa_float_round_mode_16_64 0
		.amdhsa_float_denorm_mode_32 3
		.amdhsa_float_denorm_mode_16_64 3
		.amdhsa_dx10_clamp 1
		.amdhsa_ieee_mode 1
		.amdhsa_fp16_overflow 0
		.amdhsa_tg_split 0
		.amdhsa_exception_fp_ieee_invalid_op 0
		.amdhsa_exception_fp_denorm_src 0
		.amdhsa_exception_fp_ieee_div_zero 0
		.amdhsa_exception_fp_ieee_overflow 0
		.amdhsa_exception_fp_ieee_underflow 0
		.amdhsa_exception_fp_ieee_inexact 0
		.amdhsa_exception_int_div_zero 0
	.end_amdhsa_kernel
	.section	.text._Z6kernelI14exclusive_scanILN6hipcub18BlockScanAlgorithmE0EEhLj256ELj11ELj100EEvPKT0_PS4_S4_,"axG",@progbits,_Z6kernelI14exclusive_scanILN6hipcub18BlockScanAlgorithmE0EEhLj256ELj11ELj100EEvPKT0_PS4_S4_,comdat
.Lfunc_end208:
	.size	_Z6kernelI14exclusive_scanILN6hipcub18BlockScanAlgorithmE0EEhLj256ELj11ELj100EEvPKT0_PS4_S4_, .Lfunc_end208-_Z6kernelI14exclusive_scanILN6hipcub18BlockScanAlgorithmE0EEhLj256ELj11ELj100EEvPKT0_PS4_S4_
                                        ; -- End function
	.section	.AMDGPU.csdata,"",@progbits
; Kernel info:
; codeLenInByte = 1276
; NumSgprs: 36
; NumVgprs: 42
; NumAgprs: 0
; TotalNumVgprs: 42
; ScratchSize: 0
; MemoryBound: 0
; FloatMode: 240
; IeeeMode: 1
; LDSByteSize: 4 bytes/workgroup (compile time only)
; SGPRBlocks: 4
; VGPRBlocks: 5
; NumSGPRsForWavesPerEU: 36
; NumVGPRsForWavesPerEU: 42
; AccumOffset: 44
; Occupancy: 8
; WaveLimiterHint : 0
; COMPUTE_PGM_RSRC2:SCRATCH_EN: 0
; COMPUTE_PGM_RSRC2:USER_SGPR: 2
; COMPUTE_PGM_RSRC2:TRAP_HANDLER: 0
; COMPUTE_PGM_RSRC2:TGID_X_EN: 1
; COMPUTE_PGM_RSRC2:TGID_Y_EN: 0
; COMPUTE_PGM_RSRC2:TGID_Z_EN: 0
; COMPUTE_PGM_RSRC2:TIDIG_COMP_CNT: 0
; COMPUTE_PGM_RSRC3_GFX90A:ACCUM_OFFSET: 10
; COMPUTE_PGM_RSRC3_GFX90A:TG_SPLIT: 0
	.section	.text._Z6kernelI14exclusive_scanILN6hipcub18BlockScanAlgorithmE0EEhLj256ELj16ELj100EEvPKT0_PS4_S4_,"axG",@progbits,_Z6kernelI14exclusive_scanILN6hipcub18BlockScanAlgorithmE0EEhLj256ELj16ELj100EEvPKT0_PS4_S4_,comdat
	.protected	_Z6kernelI14exclusive_scanILN6hipcub18BlockScanAlgorithmE0EEhLj256ELj16ELj100EEvPKT0_PS4_S4_ ; -- Begin function _Z6kernelI14exclusive_scanILN6hipcub18BlockScanAlgorithmE0EEhLj256ELj16ELj100EEvPKT0_PS4_S4_
	.globl	_Z6kernelI14exclusive_scanILN6hipcub18BlockScanAlgorithmE0EEhLj256ELj16ELj100EEvPKT0_PS4_S4_
	.p2align	8
	.type	_Z6kernelI14exclusive_scanILN6hipcub18BlockScanAlgorithmE0EEhLj256ELj16ELj100EEvPKT0_PS4_S4_,@function
_Z6kernelI14exclusive_scanILN6hipcub18BlockScanAlgorithmE0EEhLj256ELj16ELj100EEvPKT0_PS4_S4_: ; @_Z6kernelI14exclusive_scanILN6hipcub18BlockScanAlgorithmE0EEhLj256ELj16ELj100EEvPKT0_PS4_S4_
; %bb.0:
	s_load_dword s3, s[0:1], 0x24
	s_load_dwordx4 s[24:27], s[0:1], 0x0
	s_load_dword s28, s[0:1], 0x10
	v_mbcnt_lo_u32_b32 v1, -1, 0
	v_mbcnt_hi_u32_b32 v9, -1, v1
	s_waitcnt lgkmcnt(0)
	s_and_b32 s0, s3, 0xffff
	s_mul_i32 s2, s2, s0
	v_add_lshl_u32 v6, s2, v0, 4
	global_load_dwordx4 v[2:5], v6, s[24:25]
	v_or_b32_e32 v8, 63, v0
	v_and_b32_e32 v1, 15, v9
	v_cmp_eq_u32_e64 s[10:11], v8, v0
	v_add_u32_e32 v8, -1, v9
	v_and_b32_e32 v10, 64, v9
	v_cmp_eq_u32_e32 vcc, 0, v1
	v_cmp_lt_u32_e64 s[0:1], 1, v1
	v_cmp_lt_u32_e64 s[2:3], 3, v1
	v_cmp_lt_u32_e64 s[4:5], 7, v1
	v_and_b32_e32 v1, 16, v9
	v_cmp_lt_i32_e64 s[16:17], v8, v10
	v_cmp_eq_u32_e64 s[6:7], 0, v1
	v_cmp_lt_u32_e64 s[8:9], 31, v9
	v_lshrrev_b32_e32 v1, 6, v0
	v_cndmask_b32_e64 v8, v8, v9, s[16:17]
	v_cmp_eq_u32_e64 s[16:17], 0, v9
	v_and_b32_e32 v9, 3, v9
	v_mov_b32_e32 v7, 0
	v_cmp_gt_u32_e64 s[12:13], 4, v0
	v_cmp_lt_u32_e64 s[14:15], 63, v0
	v_lshlrev_b32_e32 v8, 2, v8
	v_cmp_eq_u32_e64 s[18:19], 0, v0
	v_cmp_eq_u32_e64 s[20:21], 0, v9
	v_cmp_lt_u32_e64 s[22:23], 1, v9
	v_add_u32_e32 v9, -1, v1
	s_movk_i32 s29, 0x64
	v_mov_b32_e32 v10, s28
	s_branch .LBB209_2
.LBB209_1:                              ;   in Loop: Header=BB209_2 Depth=1
	s_or_b64 exec, exec, s[24:25]
	v_add_u16_e32 v15, v16, v15
	v_and_b32_e32 v15, 0xff, v15
	ds_bpermute_b32 v15, v8, v15
	s_add_i32 s29, s29, -1
	s_cmp_lg_u32 s29, 0
	s_waitcnt lgkmcnt(0)
	v_cndmask_b32_e64 v15, v15, v16, s[16:17]
	v_cndmask_b32_e64 v15, v15, v10, s[18:19]
	v_add_u16_e32 v16, v15, v2
	v_add_u16_e32 v17, v16, v14
	v_lshlrev_b16_e32 v14, 8, v16
	v_add_u16_sdwa v16, v17, v2 dst_sel:DWORD dst_unused:UNUSED_PAD src0_sel:DWORD src1_sel:WORD_1
	v_add_u16_sdwa v18, v16, v2 dst_sel:DWORD dst_unused:UNUSED_PAD src0_sel:DWORD src1_sel:BYTE_3
	v_lshlrev_b16_e32 v2, 8, v16
	v_add_u16_e32 v16, v18, v3
	v_add_u16_e32 v12, v16, v12
	v_or_b32_sdwa v14, v15, v14 dst_sel:DWORD dst_unused:UNUSED_PAD src0_sel:BYTE_0 src1_sel:DWORD
	v_or_b32_sdwa v15, v17, v2 dst_sel:WORD_1 dst_unused:UNUSED_PAD src0_sel:BYTE_0 src1_sel:DWORD
	v_add_u16_sdwa v17, v12, v3 dst_sel:DWORD dst_unused:UNUSED_PAD src0_sel:DWORD src1_sel:WORD_1
	v_add_u16_sdwa v19, v17, v3 dst_sel:DWORD dst_unused:UNUSED_PAD src0_sel:DWORD src1_sel:BYTE_3
	v_add_u16_e32 v20, v19, v4
	v_add_u16_e32 v21, v20, v13
	v_add_u16_sdwa v22, v21, v4 dst_sel:DWORD dst_unused:UNUSED_PAD src0_sel:DWORD src1_sel:WORD_1
	v_add_u16_sdwa v23, v22, v4 dst_sel:DWORD dst_unused:UNUSED_PAD src0_sel:DWORD src1_sel:BYTE_3
	v_add_u16_e32 v24, v23, v5
	v_add_u16_e32 v25, v24, v11
	v_add_u16_sdwa v5, v25, v5 dst_sel:DWORD dst_unused:UNUSED_PAD src0_sel:DWORD src1_sel:WORD_1
	v_lshlrev_b16_e32 v3, 8, v16
	v_lshlrev_b16_e32 v4, 8, v20
	v_or_b32_sdwa v11, v18, v3 dst_sel:DWORD dst_unused:UNUSED_PAD src0_sel:BYTE_0 src1_sel:DWORD
	v_lshlrev_b16_e32 v3, 8, v17
	v_or_b32_sdwa v13, v19, v4 dst_sel:DWORD dst_unused:UNUSED_PAD src0_sel:BYTE_0 src1_sel:DWORD
	v_lshlrev_b16_e32 v4, 8, v22
	v_lshlrev_b16_e32 v17, 8, v24
	;; [unrolled: 1-line block ×3, first 2 shown]
	v_or_b32_sdwa v12, v12, v3 dst_sel:WORD_1 dst_unused:UNUSED_PAD src0_sel:BYTE_0 src1_sel:DWORD
	v_or_b32_sdwa v16, v21, v4 dst_sel:WORD_1 dst_unused:UNUSED_PAD src0_sel:BYTE_0 src1_sel:DWORD
	v_or_b32_sdwa v17, v23, v17 dst_sel:DWORD dst_unused:UNUSED_PAD src0_sel:BYTE_0 src1_sel:DWORD
	v_or_b32_sdwa v18, v25, v5 dst_sel:WORD_1 dst_unused:UNUSED_PAD src0_sel:BYTE_0 src1_sel:DWORD
	v_or_b32_sdwa v2, v14, v15 dst_sel:DWORD dst_unused:UNUSED_PAD src0_sel:WORD_0 src1_sel:DWORD
	v_or_b32_sdwa v3, v11, v12 dst_sel:DWORD dst_unused:UNUSED_PAD src0_sel:WORD_0 src1_sel:DWORD
	;; [unrolled: 1-line block ×4, first 2 shown]
	s_cbranch_scc0 .LBB209_8
.LBB209_2:                              ; =>This Inner Loop Header: Depth=1
	s_waitcnt vmcnt(0)
	v_lshrrev_b32_e32 v14, 8, v2
	v_add_u16_e32 v13, v14, v2
	v_add_u16_sdwa v13, v13, v2 dst_sel:DWORD dst_unused:UNUSED_PAD src0_sel:DWORD src1_sel:WORD_1
	v_add_u16_sdwa v13, v13, v2 dst_sel:DWORD dst_unused:UNUSED_PAD src0_sel:DWORD src1_sel:BYTE_3
	v_lshrrev_b32_e32 v12, 8, v3
	v_add_u16_e32 v13, v13, v3
	v_add_u16_e32 v13, v13, v12
	v_add_u16_sdwa v13, v13, v3 dst_sel:DWORD dst_unused:UNUSED_PAD src0_sel:DWORD src1_sel:WORD_1
	v_add_u16_sdwa v13, v13, v3 dst_sel:DWORD dst_unused:UNUSED_PAD src0_sel:DWORD src1_sel:BYTE_3
	v_add_u16_e32 v15, v13, v4
	v_lshrrev_b32_e32 v13, 8, v4
	v_add_u16_e32 v15, v15, v13
	v_add_u16_sdwa v15, v15, v4 dst_sel:DWORD dst_unused:UNUSED_PAD src0_sel:DWORD src1_sel:WORD_1
	v_add_u16_sdwa v15, v15, v4 dst_sel:DWORD dst_unused:UNUSED_PAD src0_sel:DWORD src1_sel:BYTE_3
	v_lshrrev_b32_e32 v11, 8, v5
	v_add_u16_e32 v15, v15, v5
	v_add_u16_e32 v15, v15, v11
	v_add_u16_sdwa v15, v15, v5 dst_sel:DWORD dst_unused:UNUSED_PAD src0_sel:DWORD src1_sel:WORD_1
	v_add_u16_sdwa v15, v15, v5 dst_sel:DWORD dst_unused:UNUSED_PAD src0_sel:DWORD src1_sel:BYTE_3
	v_and_b32_e32 v16, 0xff, v15
	s_nop 1
	v_mov_b32_dpp v16, v16 row_shr:1 row_mask:0xf bank_mask:0xf
	v_cndmask_b32_e64 v16, v16, 0, vcc
	v_add_u16_e32 v15, v15, v16
	v_and_b32_e32 v16, 0xff, v15
	s_nop 1
	v_mov_b32_dpp v16, v16 row_shr:2 row_mask:0xf bank_mask:0xf
	v_cndmask_b32_e64 v16, 0, v16, s[0:1]
	v_add_u16_e32 v15, v15, v16
	v_and_b32_e32 v16, 0xff, v15
	s_nop 1
	v_mov_b32_dpp v16, v16 row_shr:4 row_mask:0xf bank_mask:0xf
	v_cndmask_b32_e64 v16, 0, v16, s[2:3]
	;; [unrolled: 5-line block ×3, first 2 shown]
	v_add_u16_e32 v15, v15, v16
	v_and_b32_e32 v16, 0xff, v15
	s_nop 1
	v_mov_b32_dpp v16, v16 row_bcast:15 row_mask:0xf bank_mask:0xf
	v_cndmask_b32_e64 v16, v16, 0, s[6:7]
	v_add_u16_e32 v15, v15, v16
	v_and_b32_e32 v16, 0xff, v15
	s_nop 1
	v_mov_b32_dpp v16, v16 row_bcast:31 row_mask:0xf bank_mask:0xf
	v_cndmask_b32_e64 v16, 0, v16, s[8:9]
	v_add_u16_e32 v15, v15, v16
	s_and_saveexec_b64 s[24:25], s[10:11]
	s_cbranch_execz .LBB209_4
; %bb.3:                                ;   in Loop: Header=BB209_2 Depth=1
	ds_write_b8 v1, v15
.LBB209_4:                              ;   in Loop: Header=BB209_2 Depth=1
	s_or_b64 exec, exec, s[24:25]
	s_waitcnt lgkmcnt(0)
	s_barrier
	s_and_saveexec_b64 s[24:25], s[12:13]
	s_cbranch_execz .LBB209_6
; %bb.5:                                ;   in Loop: Header=BB209_2 Depth=1
	ds_read_u8 v16, v0
	s_waitcnt lgkmcnt(0)
	v_and_b32_e32 v17, 0xff, v16
	s_nop 1
	v_mov_b32_dpp v17, v17 row_shr:1 row_mask:0xf bank_mask:0xf
	v_cndmask_b32_e64 v17, v17, 0, s[20:21]
	v_add_u16_e32 v16, v17, v16
	v_and_b32_e32 v17, 0xff, v16
	s_nop 1
	v_mov_b32_dpp v17, v17 row_shr:2 row_mask:0xf bank_mask:0xf
	v_cndmask_b32_e64 v17, 0, v17, s[22:23]
	v_add_u16_e32 v16, v16, v17
	ds_write_b8 v0, v16
.LBB209_6:                              ;   in Loop: Header=BB209_2 Depth=1
	s_or_b64 exec, exec, s[24:25]
	v_mov_b32_e32 v16, s28
	s_waitcnt lgkmcnt(0)
	s_barrier
	s_and_saveexec_b64 s[24:25], s[14:15]
	s_cbranch_execz .LBB209_1
; %bb.7:                                ;   in Loop: Header=BB209_2 Depth=1
	ds_read_u8 v16, v9
	s_waitcnt lgkmcnt(0)
	v_add_u16_e32 v16, s28, v16
	s_branch .LBB209_1
.LBB209_8:
	v_lshl_add_u64 v[4:5], s[26:27], 0, v[6:7]
	v_or_b32_sdwa v3, v17, v18 dst_sel:DWORD dst_unused:UNUSED_PAD src0_sel:WORD_0 src1_sel:DWORD
	v_or_b32_sdwa v2, v13, v16 dst_sel:DWORD dst_unused:UNUSED_PAD src0_sel:WORD_0 src1_sel:DWORD
	;; [unrolled: 1-line block ×4, first 2 shown]
	global_store_dwordx4 v[4:5], v[0:3], off
	s_endpgm
	.section	.rodata,"a",@progbits
	.p2align	6, 0x0
	.amdhsa_kernel _Z6kernelI14exclusive_scanILN6hipcub18BlockScanAlgorithmE0EEhLj256ELj16ELj100EEvPKT0_PS4_S4_
		.amdhsa_group_segment_fixed_size 4
		.amdhsa_private_segment_fixed_size 0
		.amdhsa_kernarg_size 280
		.amdhsa_user_sgpr_count 2
		.amdhsa_user_sgpr_dispatch_ptr 0
		.amdhsa_user_sgpr_queue_ptr 0
		.amdhsa_user_sgpr_kernarg_segment_ptr 1
		.amdhsa_user_sgpr_dispatch_id 0
		.amdhsa_user_sgpr_kernarg_preload_length 0
		.amdhsa_user_sgpr_kernarg_preload_offset 0
		.amdhsa_user_sgpr_private_segment_size 0
		.amdhsa_uses_dynamic_stack 0
		.amdhsa_enable_private_segment 0
		.amdhsa_system_sgpr_workgroup_id_x 1
		.amdhsa_system_sgpr_workgroup_id_y 0
		.amdhsa_system_sgpr_workgroup_id_z 0
		.amdhsa_system_sgpr_workgroup_info 0
		.amdhsa_system_vgpr_workitem_id 0
		.amdhsa_next_free_vgpr 26
		.amdhsa_next_free_sgpr 30
		.amdhsa_accum_offset 28
		.amdhsa_reserve_vcc 1
		.amdhsa_float_round_mode_32 0
		.amdhsa_float_round_mode_16_64 0
		.amdhsa_float_denorm_mode_32 3
		.amdhsa_float_denorm_mode_16_64 3
		.amdhsa_dx10_clamp 1
		.amdhsa_ieee_mode 1
		.amdhsa_fp16_overflow 0
		.amdhsa_tg_split 0
		.amdhsa_exception_fp_ieee_invalid_op 0
		.amdhsa_exception_fp_denorm_src 0
		.amdhsa_exception_fp_ieee_div_zero 0
		.amdhsa_exception_fp_ieee_overflow 0
		.amdhsa_exception_fp_ieee_underflow 0
		.amdhsa_exception_fp_ieee_inexact 0
		.amdhsa_exception_int_div_zero 0
	.end_amdhsa_kernel
	.section	.text._Z6kernelI14exclusive_scanILN6hipcub18BlockScanAlgorithmE0EEhLj256ELj16ELj100EEvPKT0_PS4_S4_,"axG",@progbits,_Z6kernelI14exclusive_scanILN6hipcub18BlockScanAlgorithmE0EEhLj256ELj16ELj100EEvPKT0_PS4_S4_,comdat
.Lfunc_end209:
	.size	_Z6kernelI14exclusive_scanILN6hipcub18BlockScanAlgorithmE0EEhLj256ELj16ELj100EEvPKT0_PS4_S4_, .Lfunc_end209-_Z6kernelI14exclusive_scanILN6hipcub18BlockScanAlgorithmE0EEhLj256ELj16ELj100EEvPKT0_PS4_S4_
                                        ; -- End function
	.section	.AMDGPU.csdata,"",@progbits
; Kernel info:
; codeLenInByte = 1032
; NumSgprs: 36
; NumVgprs: 26
; NumAgprs: 0
; TotalNumVgprs: 26
; ScratchSize: 0
; MemoryBound: 0
; FloatMode: 240
; IeeeMode: 1
; LDSByteSize: 4 bytes/workgroup (compile time only)
; SGPRBlocks: 4
; VGPRBlocks: 3
; NumSGPRsForWavesPerEU: 36
; NumVGPRsForWavesPerEU: 26
; AccumOffset: 28
; Occupancy: 8
; WaveLimiterHint : 0
; COMPUTE_PGM_RSRC2:SCRATCH_EN: 0
; COMPUTE_PGM_RSRC2:USER_SGPR: 2
; COMPUTE_PGM_RSRC2:TRAP_HANDLER: 0
; COMPUTE_PGM_RSRC2:TGID_X_EN: 1
; COMPUTE_PGM_RSRC2:TGID_Y_EN: 0
; COMPUTE_PGM_RSRC2:TGID_Z_EN: 0
; COMPUTE_PGM_RSRC2:TIDIG_COMP_CNT: 0
; COMPUTE_PGM_RSRC3_GFX90A:ACCUM_OFFSET: 6
; COMPUTE_PGM_RSRC3_GFX90A:TG_SPLIT: 0
	.section	.text._Z6kernelI14exclusive_scanILN6hipcub18BlockScanAlgorithmE0EEN15benchmark_utils11custom_typeIffEELj256ELj1ELj100EEvPKT0_PS7_S7_,"axG",@progbits,_Z6kernelI14exclusive_scanILN6hipcub18BlockScanAlgorithmE0EEN15benchmark_utils11custom_typeIffEELj256ELj1ELj100EEvPKT0_PS7_S7_,comdat
	.protected	_Z6kernelI14exclusive_scanILN6hipcub18BlockScanAlgorithmE0EEN15benchmark_utils11custom_typeIffEELj256ELj1ELj100EEvPKT0_PS7_S7_ ; -- Begin function _Z6kernelI14exclusive_scanILN6hipcub18BlockScanAlgorithmE0EEN15benchmark_utils11custom_typeIffEELj256ELj1ELj100EEvPKT0_PS7_S7_
	.globl	_Z6kernelI14exclusive_scanILN6hipcub18BlockScanAlgorithmE0EEN15benchmark_utils11custom_typeIffEELj256ELj1ELj100EEvPKT0_PS7_S7_
	.p2align	8
	.type	_Z6kernelI14exclusive_scanILN6hipcub18BlockScanAlgorithmE0EEN15benchmark_utils11custom_typeIffEELj256ELj1ELj100EEvPKT0_PS7_S7_,@function
_Z6kernelI14exclusive_scanILN6hipcub18BlockScanAlgorithmE0EEN15benchmark_utils11custom_typeIffEELj256ELj1ELj100EEvPKT0_PS7_S7_: ; @_Z6kernelI14exclusive_scanILN6hipcub18BlockScanAlgorithmE0EEN15benchmark_utils11custom_typeIffEELj256ELj1ELj100EEvPKT0_PS7_S7_
; %bb.0:
	s_load_dwordx4 s[20:23], s[0:1], 0x0
	s_load_dword s3, s[0:1], 0x24
	s_load_dwordx2 s[24:25], s[0:1], 0x10
	v_mov_b32_e32 v3, 0
	v_mbcnt_lo_u32_b32 v1, -1, 0
	s_waitcnt lgkmcnt(0)
	v_mov_b32_e32 v4, s20
	s_and_b32 s0, s3, 0xffff
	s_mul_i32 s2, s2, s0
	v_mov_b32_e32 v5, s21
	v_add_u32_e32 v2, s2, v0
	v_lshl_add_u64 v[4:5], v[2:3], 3, v[4:5]
	global_load_dwordx2 v[4:5], v[4:5], off
	v_mbcnt_hi_u32_b32 v1, -1, v1
	v_and_b32_e32 v6, 15, v1
	v_cmp_eq_u32_e32 vcc, 0, v6
	v_cmp_lt_u32_e64 s[0:1], 1, v6
	v_cmp_lt_u32_e64 s[2:3], 3, v6
	;; [unrolled: 1-line block ×3, first 2 shown]
	v_and_b32_e32 v6, 16, v1
	v_cmp_eq_u32_e64 s[6:7], 0, v6
	v_or_b32_e32 v6, 63, v0
	v_cmp_eq_u32_e64 s[10:11], v6, v0
	v_add_u32_e32 v6, -1, v1
	v_and_b32_e32 v7, 64, v1
	v_cmp_lt_i32_e64 s[16:17], v6, v7
	v_cmp_gt_u32_e64 s[12:13], 4, v0
	v_cmp_lt_u32_e64 s[14:15], 63, v0
	v_cndmask_b32_e64 v6, v6, v1, s[16:17]
	v_lshlrev_b32_e32 v8, 2, v6
	v_lshrrev_b32_e32 v6, 3, v0
	v_and_b32_e32 v9, 24, v6
	v_lshlrev_b32_e32 v10, 3, v0
	v_and_b32_e32 v0, 3, v1
	v_cmp_lt_u32_e64 s[8:9], 31, v1
	v_cmp_eq_u32_e64 s[16:17], 0, v1
	v_cmp_eq_u32_e64 s[18:19], 0, v0
	v_cmp_lt_u32_e64 s[20:21], 1, v0
	v_add_u32_e32 v11, -8, v9
	s_movk_i32 s28, 0x64
	s_branch .LBB210_2
.LBB210_1:                              ;   in Loop: Header=BB210_2 Depth=1
	s_or_b64 exec, exec, s[26:27]
	v_cndmask_b32_e64 v1, v1, v5, s[8:9]
	v_cndmask_b32_e64 v0, v0, v4, s[8:9]
	v_pk_add_f32 v[0:1], v[0:1], v[6:7]
	ds_bpermute_b32 v1, v8, v1
	ds_bpermute_b32 v0, v8, v0
	s_add_i32 s28, s28, -1
	s_cmp_lg_u32 s28, 0
	s_waitcnt lgkmcnt(1)
	v_cndmask_b32_e64 v5, v1, v7, s[16:17]
	s_waitcnt lgkmcnt(0)
	v_cndmask_b32_e64 v4, v0, v6, s[16:17]
	s_cbranch_scc0 .LBB210_8
.LBB210_2:                              ; =>This Inner Loop Header: Depth=1
	s_waitcnt vmcnt(0)
	v_mov_b32_dpp v0, v4 row_shr:1 row_mask:0xf bank_mask:0xf
	v_mov_b32_dpp v1, v5 row_shr:1 row_mask:0xf bank_mask:0xf
	v_pk_add_f32 v[0:1], v[4:5], v[0:1]
	s_nop 0
	v_cndmask_b32_e32 v1, v1, v5, vcc
	v_cndmask_b32_e32 v0, v0, v4, vcc
	s_nop 0
	v_mov_b32_dpp v5, v1 row_shr:2 row_mask:0xf bank_mask:0xf
	v_mov_b32_dpp v4, v0 row_shr:2 row_mask:0xf bank_mask:0xf
	v_pk_add_f32 v[4:5], v[0:1], v[4:5]
	s_nop 0
	v_cndmask_b32_e64 v1, v1, v5, s[0:1]
	v_cndmask_b32_e64 v0, v0, v4, s[0:1]
	s_nop 0
	v_mov_b32_dpp v5, v1 row_shr:4 row_mask:0xf bank_mask:0xf
	v_mov_b32_dpp v4, v0 row_shr:4 row_mask:0xf bank_mask:0xf
	v_pk_add_f32 v[4:5], v[0:1], v[4:5]
	s_nop 0
	v_cndmask_b32_e64 v1, v1, v5, s[2:3]
	v_cndmask_b32_e64 v0, v0, v4, s[2:3]
	;; [unrolled: 7-line block ×3, first 2 shown]
	s_nop 0
	v_mov_b32_dpp v5, v1 row_bcast:15 row_mask:0xf bank_mask:0xf
	v_mov_b32_dpp v4, v0 row_bcast:15 row_mask:0xf bank_mask:0xf
	v_pk_add_f32 v[4:5], v[0:1], v[4:5]
	s_nop 0
	v_cndmask_b32_e64 v1, v5, v1, s[6:7]
	v_cndmask_b32_e64 v0, v4, v0, s[6:7]
	s_nop 0
	v_mov_b32_dpp v5, v1 row_bcast:31 row_mask:0xf bank_mask:0xf
	v_mov_b32_dpp v4, v0 row_bcast:31 row_mask:0xf bank_mask:0xf
	v_pk_add_f32 v[4:5], v[0:1], v[4:5]
	s_and_saveexec_b64 s[26:27], s[10:11]
	s_cbranch_execz .LBB210_4
; %bb.3:                                ;   in Loop: Header=BB210_2 Depth=1
	v_cndmask_b32_e64 v7, v1, v5, s[8:9]
	v_cndmask_b32_e64 v6, v0, v4, s[8:9]
	ds_write_b64 v9, v[6:7]
.LBB210_4:                              ;   in Loop: Header=BB210_2 Depth=1
	s_or_b64 exec, exec, s[26:27]
	s_waitcnt lgkmcnt(0)
	s_barrier
	s_and_saveexec_b64 s[26:27], s[12:13]
	s_cbranch_execz .LBB210_6
; %bb.5:                                ;   in Loop: Header=BB210_2 Depth=1
	ds_read_b64 v[6:7], v10
	s_waitcnt lgkmcnt(0)
	s_nop 0
	v_mov_b32_dpp v12, v6 row_shr:1 row_mask:0xf bank_mask:0xf
	v_mov_b32_dpp v13, v7 row_shr:1 row_mask:0xf bank_mask:0xf
	v_pk_add_f32 v[12:13], v[6:7], v[12:13]
	s_nop 0
	v_cndmask_b32_e64 v7, v13, v7, s[18:19]
	v_cndmask_b32_e64 v6, v12, v6, s[18:19]
	s_nop 0
	v_mov_b32_dpp v13, v7 row_shr:2 row_mask:0xf bank_mask:0xf
	v_mov_b32_dpp v12, v6 row_shr:2 row_mask:0xf bank_mask:0xf
	v_pk_add_f32 v[12:13], v[6:7], v[12:13]
	s_nop 0
	v_cndmask_b32_e64 v7, v7, v13, s[20:21]
	v_cndmask_b32_e64 v6, v6, v12, s[20:21]
	ds_write_b64 v10, v[6:7]
.LBB210_6:                              ;   in Loop: Header=BB210_2 Depth=1
	s_or_b64 exec, exec, s[26:27]
	v_mov_b64_e32 v[6:7], s[24:25]
	s_waitcnt lgkmcnt(0)
	s_barrier
	s_and_saveexec_b64 s[26:27], s[14:15]
	s_cbranch_execz .LBB210_1
; %bb.7:                                ;   in Loop: Header=BB210_2 Depth=1
	ds_read_b64 v[6:7], v11
	s_waitcnt lgkmcnt(0)
	v_pk_add_f32 v[6:7], s[24:25], v[6:7]
	s_branch .LBB210_1
.LBB210_8:
	v_mov_b32_e32 v0, s22
	v_mov_b32_e32 v1, s23
	v_lshl_add_u64 v[0:1], v[2:3], 3, v[0:1]
	global_store_dwordx2 v[0:1], v[4:5], off
	s_endpgm
	.section	.rodata,"a",@progbits
	.p2align	6, 0x0
	.amdhsa_kernel _Z6kernelI14exclusive_scanILN6hipcub18BlockScanAlgorithmE0EEN15benchmark_utils11custom_typeIffEELj256ELj1ELj100EEvPKT0_PS7_S7_
		.amdhsa_group_segment_fixed_size 32
		.amdhsa_private_segment_fixed_size 0
		.amdhsa_kernarg_size 280
		.amdhsa_user_sgpr_count 2
		.amdhsa_user_sgpr_dispatch_ptr 0
		.amdhsa_user_sgpr_queue_ptr 0
		.amdhsa_user_sgpr_kernarg_segment_ptr 1
		.amdhsa_user_sgpr_dispatch_id 0
		.amdhsa_user_sgpr_kernarg_preload_length 0
		.amdhsa_user_sgpr_kernarg_preload_offset 0
		.amdhsa_user_sgpr_private_segment_size 0
		.amdhsa_uses_dynamic_stack 0
		.amdhsa_enable_private_segment 0
		.amdhsa_system_sgpr_workgroup_id_x 1
		.amdhsa_system_sgpr_workgroup_id_y 0
		.amdhsa_system_sgpr_workgroup_id_z 0
		.amdhsa_system_sgpr_workgroup_info 0
		.amdhsa_system_vgpr_workitem_id 0
		.amdhsa_next_free_vgpr 14
		.amdhsa_next_free_sgpr 29
		.amdhsa_accum_offset 16
		.amdhsa_reserve_vcc 1
		.amdhsa_float_round_mode_32 0
		.amdhsa_float_round_mode_16_64 0
		.amdhsa_float_denorm_mode_32 3
		.amdhsa_float_denorm_mode_16_64 3
		.amdhsa_dx10_clamp 1
		.amdhsa_ieee_mode 1
		.amdhsa_fp16_overflow 0
		.amdhsa_tg_split 0
		.amdhsa_exception_fp_ieee_invalid_op 0
		.amdhsa_exception_fp_denorm_src 0
		.amdhsa_exception_fp_ieee_div_zero 0
		.amdhsa_exception_fp_ieee_overflow 0
		.amdhsa_exception_fp_ieee_underflow 0
		.amdhsa_exception_fp_ieee_inexact 0
		.amdhsa_exception_int_div_zero 0
	.end_amdhsa_kernel
	.section	.text._Z6kernelI14exclusive_scanILN6hipcub18BlockScanAlgorithmE0EEN15benchmark_utils11custom_typeIffEELj256ELj1ELj100EEvPKT0_PS7_S7_,"axG",@progbits,_Z6kernelI14exclusive_scanILN6hipcub18BlockScanAlgorithmE0EEN15benchmark_utils11custom_typeIffEELj256ELj1ELj100EEvPKT0_PS7_S7_,comdat
.Lfunc_end210:
	.size	_Z6kernelI14exclusive_scanILN6hipcub18BlockScanAlgorithmE0EEN15benchmark_utils11custom_typeIffEELj256ELj1ELj100EEvPKT0_PS7_S7_, .Lfunc_end210-_Z6kernelI14exclusive_scanILN6hipcub18BlockScanAlgorithmE0EEN15benchmark_utils11custom_typeIffEELj256ELj1ELj100EEvPKT0_PS7_S7_
                                        ; -- End function
	.section	.AMDGPU.csdata,"",@progbits
; Kernel info:
; codeLenInByte = 832
; NumSgprs: 35
; NumVgprs: 14
; NumAgprs: 0
; TotalNumVgprs: 14
; ScratchSize: 0
; MemoryBound: 0
; FloatMode: 240
; IeeeMode: 1
; LDSByteSize: 32 bytes/workgroup (compile time only)
; SGPRBlocks: 4
; VGPRBlocks: 1
; NumSGPRsForWavesPerEU: 35
; NumVGPRsForWavesPerEU: 14
; AccumOffset: 16
; Occupancy: 8
; WaveLimiterHint : 0
; COMPUTE_PGM_RSRC2:SCRATCH_EN: 0
; COMPUTE_PGM_RSRC2:USER_SGPR: 2
; COMPUTE_PGM_RSRC2:TRAP_HANDLER: 0
; COMPUTE_PGM_RSRC2:TGID_X_EN: 1
; COMPUTE_PGM_RSRC2:TGID_Y_EN: 0
; COMPUTE_PGM_RSRC2:TGID_Z_EN: 0
; COMPUTE_PGM_RSRC2:TIDIG_COMP_CNT: 0
; COMPUTE_PGM_RSRC3_GFX90A:ACCUM_OFFSET: 3
; COMPUTE_PGM_RSRC3_GFX90A:TG_SPLIT: 0
	.section	.text._Z6kernelI14exclusive_scanILN6hipcub18BlockScanAlgorithmE0EEN15benchmark_utils11custom_typeIffEELj256ELj4ELj100EEvPKT0_PS7_S7_,"axG",@progbits,_Z6kernelI14exclusive_scanILN6hipcub18BlockScanAlgorithmE0EEN15benchmark_utils11custom_typeIffEELj256ELj4ELj100EEvPKT0_PS7_S7_,comdat
	.protected	_Z6kernelI14exclusive_scanILN6hipcub18BlockScanAlgorithmE0EEN15benchmark_utils11custom_typeIffEELj256ELj4ELj100EEvPKT0_PS7_S7_ ; -- Begin function _Z6kernelI14exclusive_scanILN6hipcub18BlockScanAlgorithmE0EEN15benchmark_utils11custom_typeIffEELj256ELj4ELj100EEvPKT0_PS7_S7_
	.globl	_Z6kernelI14exclusive_scanILN6hipcub18BlockScanAlgorithmE0EEN15benchmark_utils11custom_typeIffEELj256ELj4ELj100EEvPKT0_PS7_S7_
	.p2align	8
	.type	_Z6kernelI14exclusive_scanILN6hipcub18BlockScanAlgorithmE0EEN15benchmark_utils11custom_typeIffEELj256ELj4ELj100EEvPKT0_PS7_S7_,@function
_Z6kernelI14exclusive_scanILN6hipcub18BlockScanAlgorithmE0EEN15benchmark_utils11custom_typeIffEELj256ELj4ELj100EEvPKT0_PS7_S7_: ; @_Z6kernelI14exclusive_scanILN6hipcub18BlockScanAlgorithmE0EEN15benchmark_utils11custom_typeIffEELj256ELj4ELj100EEvPKT0_PS7_S7_
; %bb.0:
	s_load_dwordx4 s[24:27], s[0:1], 0x0
	s_load_dword s3, s[0:1], 0x24
	s_load_dwordx2 s[28:29], s[0:1], 0x10
	v_mov_b32_e32 v9, 0
	v_mbcnt_lo_u32_b32 v1, -1, 0
	s_waitcnt lgkmcnt(0)
	v_mov_b32_e32 v2, s24
	s_and_b32 s0, s3, 0xffff
	s_mul_i32 s2, s2, s0
	v_mov_b32_e32 v3, s25
	v_add_lshl_u32 v8, s2, v0, 2
	v_lshl_add_u64 v[6:7], v[8:9], 3, v[2:3]
	global_load_dwordx4 v[14:17], v[6:7], off
	global_load_dwordx4 v[2:5], v[6:7], off offset:16
	v_mbcnt_hi_u32_b32 v1, -1, v1
	v_or_b32_e32 v6, 63, v0
	v_cmp_gt_u32_e32 vcc, 4, v0
	v_cmp_lt_u32_e64 s[0:1], 63, v0
	v_cmp_eq_u32_e64 s[2:3], 0, v0
	v_lshrrev_b32_e32 v7, 3, v0
	v_lshlrev_b32_e32 v18, 3, v0
	v_cmp_eq_u32_e64 s[6:7], v6, v0
	v_add_u32_e32 v0, -1, v1
	v_and_b32_e32 v6, 64, v1
	v_cmp_lt_i32_e64 s[20:21], v0, v6
	v_and_b32_e32 v10, 15, v1
	v_and_b32_e32 v11, 16, v1
	v_and_b32_e32 v19, 24, v7
	v_and_b32_e32 v7, 3, v1
	v_cndmask_b32_e64 v0, v0, v1, s[20:21]
	s_movk_i32 s30, 0x64
	v_cmp_lt_u32_e64 s[4:5], 31, v1
	v_cmp_eq_u32_e64 s[8:9], 0, v1
	v_cmp_eq_u32_e64 s[10:11], 0, v10
	v_cmp_lt_u32_e64 s[12:13], 1, v10
	v_cmp_lt_u32_e64 s[14:15], 3, v10
	;; [unrolled: 1-line block ×3, first 2 shown]
	v_cmp_eq_u32_e64 s[18:19], 0, v11
	v_cmp_eq_u32_e64 s[20:21], 0, v7
	v_cmp_lt_u32_e64 s[22:23], 1, v7
	v_add_u32_e32 v20, -8, v19
	v_lshlrev_b32_e32 v21, 2, v0
	s_waitcnt vmcnt(1)
	v_mov_b32_e32 v12, v17
	s_waitcnt vmcnt(0)
	v_mov_b32_e32 v13, v2
	v_mov_b32_e32 v10, v3
	;; [unrolled: 1-line block ×6, first 2 shown]
.LBB211_1:                              ; =>This Inner Loop Header: Depth=1
	v_mov_b32_e32 v0, v14
	v_mov_b32_e32 v1, v15
	;; [unrolled: 1-line block ×4, first 2 shown]
	v_pk_add_f32 v[2:3], v[0:1], v[6:7]
	v_mov_b32_e32 v11, v13
	v_pk_add_f32 v[2:3], v[10:11], v[2:3]
	s_nop 0
	v_pk_add_f32 v[2:3], v[4:5], v[2:3] op_sel:[0,1] op_sel_hi:[1,0]
	s_nop 1
	v_mov_b32_dpp v4, v2 row_shr:1 row_mask:0xf bank_mask:0xf
	v_mov_b32_dpp v5, v3 row_shr:1 row_mask:0xf bank_mask:0xf
	v_pk_add_f32 v[4:5], v[2:3], v[4:5]
	s_nop 0
	v_cndmask_b32_e64 v3, v5, v3, s[10:11]
	v_cndmask_b32_e64 v2, v4, v2, s[10:11]
	s_nop 0
	v_mov_b32_dpp v5, v3 row_shr:2 row_mask:0xf bank_mask:0xf
	v_mov_b32_dpp v4, v2 row_shr:2 row_mask:0xf bank_mask:0xf
	v_pk_add_f32 v[4:5], v[2:3], v[4:5]
	s_nop 0
	v_cndmask_b32_e64 v3, v3, v5, s[12:13]
	v_cndmask_b32_e64 v2, v2, v4, s[12:13]
	;; [unrolled: 7-line block ×4, first 2 shown]
	s_nop 0
	v_mov_b32_dpp v5, v3 row_bcast:15 row_mask:0xf bank_mask:0xf
	v_mov_b32_dpp v4, v2 row_bcast:15 row_mask:0xf bank_mask:0xf
	v_pk_add_f32 v[4:5], v[2:3], v[4:5]
	s_nop 0
	v_cndmask_b32_e64 v3, v5, v3, s[18:19]
	v_cndmask_b32_e64 v2, v4, v2, s[18:19]
	s_nop 0
	v_mov_b32_dpp v5, v3 row_bcast:31 row_mask:0xf bank_mask:0xf
	v_mov_b32_dpp v4, v2 row_bcast:31 row_mask:0xf bank_mask:0xf
	v_pk_add_f32 v[4:5], v[2:3], v[4:5]
	s_and_saveexec_b64 s[24:25], s[6:7]
	s_cbranch_execz .LBB211_3
; %bb.2:                                ;   in Loop: Header=BB211_1 Depth=1
	v_cndmask_b32_e64 v15, v3, v5, s[4:5]
	v_cndmask_b32_e64 v14, v2, v4, s[4:5]
	ds_write_b64 v19, v[14:15]
.LBB211_3:                              ;   in Loop: Header=BB211_1 Depth=1
	s_or_b64 exec, exec, s[24:25]
	s_waitcnt lgkmcnt(0)
	s_barrier
	s_and_saveexec_b64 s[24:25], vcc
	s_cbranch_execz .LBB211_5
; %bb.4:                                ;   in Loop: Header=BB211_1 Depth=1
	ds_read_b64 v[14:15], v18
	s_waitcnt lgkmcnt(0)
	s_nop 0
	v_mov_b32_dpp v16, v14 row_shr:1 row_mask:0xf bank_mask:0xf
	v_mov_b32_dpp v17, v15 row_shr:1 row_mask:0xf bank_mask:0xf
	v_pk_add_f32 v[16:17], v[14:15], v[16:17]
	s_nop 0
	v_cndmask_b32_e64 v15, v17, v15, s[20:21]
	v_cndmask_b32_e64 v14, v16, v14, s[20:21]
	s_nop 0
	v_mov_b32_dpp v17, v15 row_shr:2 row_mask:0xf bank_mask:0xf
	v_mov_b32_dpp v16, v14 row_shr:2 row_mask:0xf bank_mask:0xf
	v_pk_add_f32 v[16:17], v[14:15], v[16:17]
	s_nop 0
	v_cndmask_b32_e64 v15, v15, v17, s[22:23]
	v_cndmask_b32_e64 v14, v14, v16, s[22:23]
	ds_write_b64 v18, v[14:15]
.LBB211_5:                              ;   in Loop: Header=BB211_1 Depth=1
	s_or_b64 exec, exec, s[24:25]
	v_mov_b32_e32 v15, s29
	v_mov_b32_e32 v14, s28
	v_mov_b64_e32 v[16:17], s[28:29]
	s_waitcnt lgkmcnt(0)
	s_barrier
	s_and_saveexec_b64 s[24:25], s[0:1]
	s_cbranch_execz .LBB211_7
; %bb.6:                                ;   in Loop: Header=BB211_1 Depth=1
	ds_read_b64 v[14:15], v20
	s_waitcnt lgkmcnt(0)
	v_pk_add_f32 v[14:15], s[28:29], v[14:15]
	s_nop 0
	v_mov_b64_e32 v[16:17], v[14:15]
.LBB211_7:                              ;   in Loop: Header=BB211_1 Depth=1
	s_or_b64 exec, exec, s[24:25]
	v_cndmask_b32_e64 v3, v3, v5, s[4:5]
	v_cndmask_b32_e64 v2, v2, v4, s[4:5]
	v_pk_add_f32 v[2:3], v[2:3], v[16:17]
	ds_bpermute_b32 v3, v21, v3
	ds_bpermute_b32 v2, v21, v2
	v_mov_b32_e32 v4, s29
	s_add_i32 s30, s30, -1
	s_cmp_lg_u32 s30, 0
	s_waitcnt lgkmcnt(1)
	v_cndmask_b32_e64 v3, v3, v15, s[8:9]
	s_waitcnt lgkmcnt(0)
	v_cndmask_b32_e64 v2, v2, v14, s[8:9]
	v_cndmask_b32_e64 v14, v3, v4, s[2:3]
	v_mov_b32_e32 v3, s28
	v_cndmask_b32_e64 v6, v2, v3, s[2:3]
	v_add_f32_e32 v15, v7, v6
	v_pk_add_f32 v[0:1], v[0:1], v[14:15]
	s_nop 0
	v_pk_add_f32 v[2:3], v[12:13], v[0:1]
	s_nop 0
	v_add_f32_e32 v5, v10, v2
	s_cbranch_scc0 .LBB211_9
; %bb.8:                                ;   in Loop: Header=BB211_1 Depth=1
	v_mov_b32_e32 v10, v2
	v_mov_b32_e32 v7, v6
	v_mov_b64_e32 v[12:13], v[0:1]
	s_branch .LBB211_1
.LBB211_9:
	v_mov_b32_e32 v10, s26
	v_mov_b32_e32 v11, s27
	v_lshl_add_u64 v[10:11], v[8:9], 3, v[10:11]
	v_mov_b32_e32 v7, v14
	v_mov_b32_e32 v8, v15
	global_store_dwordx3 v[10:11], v[6:8], off
	global_store_dwordx4 v[10:11], v[0:3], off offset:12
	global_store_dword v[10:11], v5, off offset:28
	s_endpgm
	.section	.rodata,"a",@progbits
	.p2align	6, 0x0
	.amdhsa_kernel _Z6kernelI14exclusive_scanILN6hipcub18BlockScanAlgorithmE0EEN15benchmark_utils11custom_typeIffEELj256ELj4ELj100EEvPKT0_PS7_S7_
		.amdhsa_group_segment_fixed_size 32
		.amdhsa_private_segment_fixed_size 0
		.amdhsa_kernarg_size 280
		.amdhsa_user_sgpr_count 2
		.amdhsa_user_sgpr_dispatch_ptr 0
		.amdhsa_user_sgpr_queue_ptr 0
		.amdhsa_user_sgpr_kernarg_segment_ptr 1
		.amdhsa_user_sgpr_dispatch_id 0
		.amdhsa_user_sgpr_kernarg_preload_length 0
		.amdhsa_user_sgpr_kernarg_preload_offset 0
		.amdhsa_user_sgpr_private_segment_size 0
		.amdhsa_uses_dynamic_stack 0
		.amdhsa_enable_private_segment 0
		.amdhsa_system_sgpr_workgroup_id_x 1
		.amdhsa_system_sgpr_workgroup_id_y 0
		.amdhsa_system_sgpr_workgroup_id_z 0
		.amdhsa_system_sgpr_workgroup_info 0
		.amdhsa_system_vgpr_workitem_id 0
		.amdhsa_next_free_vgpr 22
		.amdhsa_next_free_sgpr 31
		.amdhsa_accum_offset 24
		.amdhsa_reserve_vcc 1
		.amdhsa_float_round_mode_32 0
		.amdhsa_float_round_mode_16_64 0
		.amdhsa_float_denorm_mode_32 3
		.amdhsa_float_denorm_mode_16_64 3
		.amdhsa_dx10_clamp 1
		.amdhsa_ieee_mode 1
		.amdhsa_fp16_overflow 0
		.amdhsa_tg_split 0
		.amdhsa_exception_fp_ieee_invalid_op 0
		.amdhsa_exception_fp_denorm_src 0
		.amdhsa_exception_fp_ieee_div_zero 0
		.amdhsa_exception_fp_ieee_overflow 0
		.amdhsa_exception_fp_ieee_underflow 0
		.amdhsa_exception_fp_ieee_inexact 0
		.amdhsa_exception_int_div_zero 0
	.end_amdhsa_kernel
	.section	.text._Z6kernelI14exclusive_scanILN6hipcub18BlockScanAlgorithmE0EEN15benchmark_utils11custom_typeIffEELj256ELj4ELj100EEvPKT0_PS7_S7_,"axG",@progbits,_Z6kernelI14exclusive_scanILN6hipcub18BlockScanAlgorithmE0EEN15benchmark_utils11custom_typeIffEELj256ELj4ELj100EEvPKT0_PS7_S7_,comdat
.Lfunc_end211:
	.size	_Z6kernelI14exclusive_scanILN6hipcub18BlockScanAlgorithmE0EEN15benchmark_utils11custom_typeIffEELj256ELj4ELj100EEvPKT0_PS7_S7_, .Lfunc_end211-_Z6kernelI14exclusive_scanILN6hipcub18BlockScanAlgorithmE0EEN15benchmark_utils11custom_typeIffEELj256ELj4ELj100EEvPKT0_PS7_S7_
                                        ; -- End function
	.section	.AMDGPU.csdata,"",@progbits
; Kernel info:
; codeLenInByte = 1048
; NumSgprs: 37
; NumVgprs: 22
; NumAgprs: 0
; TotalNumVgprs: 22
; ScratchSize: 0
; MemoryBound: 0
; FloatMode: 240
; IeeeMode: 1
; LDSByteSize: 32 bytes/workgroup (compile time only)
; SGPRBlocks: 4
; VGPRBlocks: 2
; NumSGPRsForWavesPerEU: 37
; NumVGPRsForWavesPerEU: 22
; AccumOffset: 24
; Occupancy: 8
; WaveLimiterHint : 0
; COMPUTE_PGM_RSRC2:SCRATCH_EN: 0
; COMPUTE_PGM_RSRC2:USER_SGPR: 2
; COMPUTE_PGM_RSRC2:TRAP_HANDLER: 0
; COMPUTE_PGM_RSRC2:TGID_X_EN: 1
; COMPUTE_PGM_RSRC2:TGID_Y_EN: 0
; COMPUTE_PGM_RSRC2:TGID_Z_EN: 0
; COMPUTE_PGM_RSRC2:TIDIG_COMP_CNT: 0
; COMPUTE_PGM_RSRC3_GFX90A:ACCUM_OFFSET: 5
; COMPUTE_PGM_RSRC3_GFX90A:TG_SPLIT: 0
	.section	.text._Z6kernelI14exclusive_scanILN6hipcub18BlockScanAlgorithmE0EEN15benchmark_utils11custom_typeIffEELj256ELj8ELj100EEvPKT0_PS7_S7_,"axG",@progbits,_Z6kernelI14exclusive_scanILN6hipcub18BlockScanAlgorithmE0EEN15benchmark_utils11custom_typeIffEELj256ELj8ELj100EEvPKT0_PS7_S7_,comdat
	.protected	_Z6kernelI14exclusive_scanILN6hipcub18BlockScanAlgorithmE0EEN15benchmark_utils11custom_typeIffEELj256ELj8ELj100EEvPKT0_PS7_S7_ ; -- Begin function _Z6kernelI14exclusive_scanILN6hipcub18BlockScanAlgorithmE0EEN15benchmark_utils11custom_typeIffEELj256ELj8ELj100EEvPKT0_PS7_S7_
	.globl	_Z6kernelI14exclusive_scanILN6hipcub18BlockScanAlgorithmE0EEN15benchmark_utils11custom_typeIffEELj256ELj8ELj100EEvPKT0_PS7_S7_
	.p2align	8
	.type	_Z6kernelI14exclusive_scanILN6hipcub18BlockScanAlgorithmE0EEN15benchmark_utils11custom_typeIffEELj256ELj8ELj100EEvPKT0_PS7_S7_,@function
_Z6kernelI14exclusive_scanILN6hipcub18BlockScanAlgorithmE0EEN15benchmark_utils11custom_typeIffEELj256ELj8ELj100EEvPKT0_PS7_S7_: ; @_Z6kernelI14exclusive_scanILN6hipcub18BlockScanAlgorithmE0EEN15benchmark_utils11custom_typeIffEELj256ELj8ELj100EEvPKT0_PS7_S7_
; %bb.0:
	s_load_dwordx4 s[24:27], s[0:1], 0x0
	s_load_dword s3, s[0:1], 0x24
	s_load_dwordx2 s[28:29], s[0:1], 0x10
	v_mov_b32_e32 v19, 0
	v_mbcnt_lo_u32_b32 v1, -1, 0
	s_waitcnt lgkmcnt(0)
	v_mov_b32_e32 v2, s24
	s_and_b32 s0, s3, 0xffff
	s_mul_i32 s2, s2, s0
	v_mov_b32_e32 v3, s25
	v_add_lshl_u32 v18, s2, v0, 3
	v_lshl_add_u64 v[20:21], v[18:19], 3, v[2:3]
	global_load_dwordx4 v[6:9], v[20:21], off
	global_load_dwordx4 v[10:13], v[20:21], off offset:16
	global_load_dwordx4 v[14:17], v[20:21], off offset:32
	;; [unrolled: 1-line block ×3, first 2 shown]
	v_mbcnt_hi_u32_b32 v1, -1, v1
	v_or_b32_e32 v20, 63, v0
	v_cmp_gt_u32_e32 vcc, 4, v0
	v_cmp_lt_u32_e64 s[0:1], 63, v0
	v_cmp_eq_u32_e64 s[2:3], 0, v0
	v_lshrrev_b32_e32 v21, 3, v0
	v_lshlrev_b32_e32 v32, 3, v0
	v_cmp_eq_u32_e64 s[6:7], v20, v0
	v_add_u32_e32 v0, -1, v1
	v_and_b32_e32 v20, 64, v1
	v_cmp_lt_i32_e64 s[20:21], v0, v20
	v_and_b32_e32 v22, 15, v1
	v_and_b32_e32 v23, 16, v1
	v_and_b32_e32 v33, 24, v21
	v_and_b32_e32 v21, 3, v1
	v_cndmask_b32_e64 v0, v0, v1, s[20:21]
	s_movk_i32 s30, 0x64
	v_cmp_lt_u32_e64 s[4:5], 31, v1
	v_cmp_eq_u32_e64 s[8:9], 0, v1
	v_cmp_eq_u32_e64 s[10:11], 0, v22
	v_cmp_lt_u32_e64 s[12:13], 1, v22
	v_cmp_lt_u32_e64 s[14:15], 3, v22
	;; [unrolled: 1-line block ×3, first 2 shown]
	v_cmp_eq_u32_e64 s[18:19], 0, v23
	v_cmp_eq_u32_e64 s[20:21], 0, v21
	v_cmp_lt_u32_e64 s[22:23], 1, v21
	v_add_u32_e32 v34, -8, v33
	v_lshlrev_b32_e32 v35, 2, v0
	s_waitcnt vmcnt(3)
	v_mov_b32_e32 v20, v9
	s_waitcnt vmcnt(2)
	v_mov_b32_e32 v21, v10
	v_mov_b32_e32 v22, v11
	v_mov_b32_e32 v23, v12
	v_mov_b32_e32 v24, v13
	s_waitcnt vmcnt(1)
	v_mov_b32_e32 v25, v14
	v_mov_b32_e32 v26, v15
	v_mov_b32_e32 v27, v16
	;; [unrolled: 5-line block ×3, first 2 shown]
	v_mov_b32_e32 v31, v8
	v_mov_b32_e32 v9, v4
.LBB212_1:                              ; =>This Inner Loop Header: Depth=1
	v_mov_b32_e32 v6, v30
	v_mov_b32_e32 v7, v31
	;; [unrolled: 1-line block ×4, first 2 shown]
	v_pk_add_f32 v[8:9], v[6:7], v[0:1]
	v_mov_b32_e32 v10, v22
	v_mov_b32_e32 v11, v21
	v_pk_add_f32 v[8:9], v[10:11], v[8:9]
	v_mov_b32_e32 v10, v24
	v_mov_b32_e32 v11, v23
	;; [unrolled: 3-line block ×4, first 2 shown]
	v_pk_add_f32 v[8:9], v[10:11], v[8:9] op_sel:[0,1] op_sel_hi:[1,0]
	v_mov_b32_e32 v2, v29
	v_pk_add_f32 v[8:9], v[2:3], v[8:9]
	s_nop 0
	v_pk_add_f32 v[4:5], v[4:5], v[8:9]
	s_nop 1
	v_mov_b32_dpp v8, v4 row_shr:1 row_mask:0xf bank_mask:0xf
	v_mov_b32_dpp v9, v5 row_shr:1 row_mask:0xf bank_mask:0xf
	v_pk_add_f32 v[8:9], v[4:5], v[8:9]
	s_nop 0
	v_cndmask_b32_e64 v5, v9, v5, s[10:11]
	v_cndmask_b32_e64 v4, v8, v4, s[10:11]
	s_nop 0
	v_mov_b32_dpp v9, v5 row_shr:2 row_mask:0xf bank_mask:0xf
	v_mov_b32_dpp v8, v4 row_shr:2 row_mask:0xf bank_mask:0xf
	v_pk_add_f32 v[8:9], v[4:5], v[8:9]
	s_nop 0
	v_cndmask_b32_e64 v5, v5, v9, s[12:13]
	v_cndmask_b32_e64 v4, v4, v8, s[12:13]
	s_nop 0
	v_mov_b32_dpp v9, v5 row_shr:4 row_mask:0xf bank_mask:0xf
	v_mov_b32_dpp v8, v4 row_shr:4 row_mask:0xf bank_mask:0xf
	v_pk_add_f32 v[8:9], v[4:5], v[8:9]
	s_nop 0
	v_cndmask_b32_e64 v5, v5, v9, s[14:15]
	v_cndmask_b32_e64 v4, v4, v8, s[14:15]
	s_nop 0
	v_mov_b32_dpp v9, v5 row_shr:8 row_mask:0xf bank_mask:0xf
	v_mov_b32_dpp v8, v4 row_shr:8 row_mask:0xf bank_mask:0xf
	v_pk_add_f32 v[8:9], v[4:5], v[8:9]
	s_nop 0
	v_cndmask_b32_e64 v5, v5, v9, s[16:17]
	v_cndmask_b32_e64 v4, v4, v8, s[16:17]
	s_nop 0
	v_mov_b32_dpp v9, v5 row_bcast:15 row_mask:0xf bank_mask:0xf
	v_mov_b32_dpp v8, v4 row_bcast:15 row_mask:0xf bank_mask:0xf
	v_pk_add_f32 v[8:9], v[4:5], v[8:9]
	s_nop 0
	v_cndmask_b32_e64 v5, v9, v5, s[18:19]
	v_cndmask_b32_e64 v4, v8, v4, s[18:19]
	s_nop 0
	v_mov_b32_dpp v9, v5 row_bcast:31 row_mask:0xf bank_mask:0xf
	v_mov_b32_dpp v8, v4 row_bcast:31 row_mask:0xf bank_mask:0xf
	v_pk_add_f32 v[8:9], v[4:5], v[8:9]
	s_and_saveexec_b64 s[24:25], s[6:7]
	s_cbranch_execz .LBB212_3
; %bb.2:                                ;   in Loop: Header=BB212_1 Depth=1
	v_cndmask_b32_e64 v11, v5, v9, s[4:5]
	v_cndmask_b32_e64 v10, v4, v8, s[4:5]
	ds_write_b64 v33, v[10:11]
.LBB212_3:                              ;   in Loop: Header=BB212_1 Depth=1
	s_or_b64 exec, exec, s[24:25]
	s_waitcnt lgkmcnt(0)
	s_barrier
	s_and_saveexec_b64 s[24:25], vcc
	s_cbranch_execz .LBB212_5
; %bb.4:                                ;   in Loop: Header=BB212_1 Depth=1
	ds_read_b64 v[10:11], v32
	s_waitcnt lgkmcnt(0)
	s_nop 0
	v_mov_b32_dpp v12, v10 row_shr:1 row_mask:0xf bank_mask:0xf
	v_mov_b32_dpp v13, v11 row_shr:1 row_mask:0xf bank_mask:0xf
	v_pk_add_f32 v[12:13], v[10:11], v[12:13]
	s_nop 0
	v_cndmask_b32_e64 v11, v13, v11, s[20:21]
	v_cndmask_b32_e64 v10, v12, v10, s[20:21]
	s_nop 0
	v_mov_b32_dpp v13, v11 row_shr:2 row_mask:0xf bank_mask:0xf
	v_mov_b32_dpp v12, v10 row_shr:2 row_mask:0xf bank_mask:0xf
	v_pk_add_f32 v[12:13], v[10:11], v[12:13]
	s_nop 0
	v_cndmask_b32_e64 v11, v11, v13, s[22:23]
	v_cndmask_b32_e64 v10, v10, v12, s[22:23]
	ds_write_b64 v32, v[10:11]
.LBB212_5:                              ;   in Loop: Header=BB212_1 Depth=1
	s_or_b64 exec, exec, s[24:25]
	v_mov_b32_e32 v11, s29
	v_mov_b32_e32 v10, s28
	v_mov_b64_e32 v[12:13], s[28:29]
	s_waitcnt lgkmcnt(0)
	s_barrier
	s_and_saveexec_b64 s[24:25], s[0:1]
	s_cbranch_execz .LBB212_7
; %bb.6:                                ;   in Loop: Header=BB212_1 Depth=1
	ds_read_b64 v[10:11], v34
	s_waitcnt lgkmcnt(0)
	v_pk_add_f32 v[10:11], s[28:29], v[10:11]
	s_nop 0
	v_mov_b64_e32 v[12:13], v[10:11]
.LBB212_7:                              ;   in Loop: Header=BB212_1 Depth=1
	s_or_b64 exec, exec, s[24:25]
	v_cndmask_b32_e64 v5, v5, v9, s[4:5]
	v_cndmask_b32_e64 v4, v4, v8, s[4:5]
	v_pk_add_f32 v[4:5], v[4:5], v[12:13]
	ds_bpermute_b32 v2, v35, v5
	ds_bpermute_b32 v0, v35, v4
	v_mov_b32_e32 v4, s29
	s_add_i32 s30, s30, -1
	s_cmp_lg_u32 s30, 0
	s_waitcnt lgkmcnt(1)
	v_cndmask_b32_e64 v2, v2, v11, s[8:9]
	s_waitcnt lgkmcnt(0)
	v_cndmask_b32_e64 v0, v0, v10, s[8:9]
	v_cndmask_b32_e64 v30, v2, v4, s[2:3]
	v_mov_b32_e32 v2, s28
	v_cndmask_b32_e64 v0, v0, v2, s[2:3]
	v_add_f32_e32 v31, v1, v0
	v_pk_add_f32 v[14:15], v[6:7], v[30:31]
	s_nop 0
	v_pk_add_f32 v[16:17], v[20:21], v[14:15]
	s_nop 0
	;; [unrolled: 2-line block ×6, first 2 shown]
	v_add_f32_e32 v5, v3, v8
	s_cbranch_scc0 .LBB212_9
; %bb.8:                                ;   in Loop: Header=BB212_1 Depth=1
	v_mov_b32_e32 v3, v8
	v_mov_b32_e32 v1, v0
	v_mov_b64_e32 v[20:21], v[14:15]
	v_mov_b64_e32 v[22:23], v[16:17]
	;; [unrolled: 1-line block ×5, first 2 shown]
	s_branch .LBB212_1
.LBB212_9:
	v_mov_b32_e32 v2, s26
	v_mov_b32_e32 v3, s27
	v_lshl_add_u64 v[18:19], v[18:19], 3, v[2:3]
	v_mov_b32_e32 v1, v30
	v_mov_b32_e32 v2, v31
	global_store_dwordx3 v[18:19], v[0:2], off
	global_store_dwordx4 v[18:19], v[14:17], off offset:12
	global_store_dwordx4 v[18:19], v[10:13], off offset:28
	;; [unrolled: 1-line block ×3, first 2 shown]
	global_store_dword v[18:19], v5, off offset:60
	s_endpgm
	.section	.rodata,"a",@progbits
	.p2align	6, 0x0
	.amdhsa_kernel _Z6kernelI14exclusive_scanILN6hipcub18BlockScanAlgorithmE0EEN15benchmark_utils11custom_typeIffEELj256ELj8ELj100EEvPKT0_PS7_S7_
		.amdhsa_group_segment_fixed_size 32
		.amdhsa_private_segment_fixed_size 0
		.amdhsa_kernarg_size 280
		.amdhsa_user_sgpr_count 2
		.amdhsa_user_sgpr_dispatch_ptr 0
		.amdhsa_user_sgpr_queue_ptr 0
		.amdhsa_user_sgpr_kernarg_segment_ptr 1
		.amdhsa_user_sgpr_dispatch_id 0
		.amdhsa_user_sgpr_kernarg_preload_length 0
		.amdhsa_user_sgpr_kernarg_preload_offset 0
		.amdhsa_user_sgpr_private_segment_size 0
		.amdhsa_uses_dynamic_stack 0
		.amdhsa_enable_private_segment 0
		.amdhsa_system_sgpr_workgroup_id_x 1
		.amdhsa_system_sgpr_workgroup_id_y 0
		.amdhsa_system_sgpr_workgroup_id_z 0
		.amdhsa_system_sgpr_workgroup_info 0
		.amdhsa_system_vgpr_workitem_id 0
		.amdhsa_next_free_vgpr 36
		.amdhsa_next_free_sgpr 31
		.amdhsa_accum_offset 36
		.amdhsa_reserve_vcc 1
		.amdhsa_float_round_mode_32 0
		.amdhsa_float_round_mode_16_64 0
		.amdhsa_float_denorm_mode_32 3
		.amdhsa_float_denorm_mode_16_64 3
		.amdhsa_dx10_clamp 1
		.amdhsa_ieee_mode 1
		.amdhsa_fp16_overflow 0
		.amdhsa_tg_split 0
		.amdhsa_exception_fp_ieee_invalid_op 0
		.amdhsa_exception_fp_denorm_src 0
		.amdhsa_exception_fp_ieee_div_zero 0
		.amdhsa_exception_fp_ieee_overflow 0
		.amdhsa_exception_fp_ieee_underflow 0
		.amdhsa_exception_fp_ieee_inexact 0
		.amdhsa_exception_int_div_zero 0
	.end_amdhsa_kernel
	.section	.text._Z6kernelI14exclusive_scanILN6hipcub18BlockScanAlgorithmE0EEN15benchmark_utils11custom_typeIffEELj256ELj8ELj100EEvPKT0_PS7_S7_,"axG",@progbits,_Z6kernelI14exclusive_scanILN6hipcub18BlockScanAlgorithmE0EEN15benchmark_utils11custom_typeIffEELj256ELj8ELj100EEvPKT0_PS7_S7_,comdat
.Lfunc_end212:
	.size	_Z6kernelI14exclusive_scanILN6hipcub18BlockScanAlgorithmE0EEN15benchmark_utils11custom_typeIffEELj256ELj8ELj100EEvPKT0_PS7_S7_, .Lfunc_end212-_Z6kernelI14exclusive_scanILN6hipcub18BlockScanAlgorithmE0EEN15benchmark_utils11custom_typeIffEELj256ELj8ELj100EEvPKT0_PS7_S7_
                                        ; -- End function
	.section	.AMDGPU.csdata,"",@progbits
; Kernel info:
; codeLenInByte = 1244
; NumSgprs: 37
; NumVgprs: 36
; NumAgprs: 0
; TotalNumVgprs: 36
; ScratchSize: 0
; MemoryBound: 0
; FloatMode: 240
; IeeeMode: 1
; LDSByteSize: 32 bytes/workgroup (compile time only)
; SGPRBlocks: 4
; VGPRBlocks: 4
; NumSGPRsForWavesPerEU: 37
; NumVGPRsForWavesPerEU: 36
; AccumOffset: 36
; Occupancy: 8
; WaveLimiterHint : 0
; COMPUTE_PGM_RSRC2:SCRATCH_EN: 0
; COMPUTE_PGM_RSRC2:USER_SGPR: 2
; COMPUTE_PGM_RSRC2:TRAP_HANDLER: 0
; COMPUTE_PGM_RSRC2:TGID_X_EN: 1
; COMPUTE_PGM_RSRC2:TGID_Y_EN: 0
; COMPUTE_PGM_RSRC2:TGID_Z_EN: 0
; COMPUTE_PGM_RSRC2:TIDIG_COMP_CNT: 0
; COMPUTE_PGM_RSRC3_GFX90A:ACCUM_OFFSET: 8
; COMPUTE_PGM_RSRC3_GFX90A:TG_SPLIT: 0
	.section	.text._Z6kernelI14exclusive_scanILN6hipcub18BlockScanAlgorithmE0EEN15benchmark_utils11custom_typeIddEELj256ELj1ELj100EEvPKT0_PS7_S7_,"axG",@progbits,_Z6kernelI14exclusive_scanILN6hipcub18BlockScanAlgorithmE0EEN15benchmark_utils11custom_typeIddEELj256ELj1ELj100EEvPKT0_PS7_S7_,comdat
	.protected	_Z6kernelI14exclusive_scanILN6hipcub18BlockScanAlgorithmE0EEN15benchmark_utils11custom_typeIddEELj256ELj1ELj100EEvPKT0_PS7_S7_ ; -- Begin function _Z6kernelI14exclusive_scanILN6hipcub18BlockScanAlgorithmE0EEN15benchmark_utils11custom_typeIddEELj256ELj1ELj100EEvPKT0_PS7_S7_
	.globl	_Z6kernelI14exclusive_scanILN6hipcub18BlockScanAlgorithmE0EEN15benchmark_utils11custom_typeIddEELj256ELj1ELj100EEvPKT0_PS7_S7_
	.p2align	8
	.type	_Z6kernelI14exclusive_scanILN6hipcub18BlockScanAlgorithmE0EEN15benchmark_utils11custom_typeIddEELj256ELj1ELj100EEvPKT0_PS7_S7_,@function
_Z6kernelI14exclusive_scanILN6hipcub18BlockScanAlgorithmE0EEN15benchmark_utils11custom_typeIddEELj256ELj1ELj100EEvPKT0_PS7_S7_: ; @_Z6kernelI14exclusive_scanILN6hipcub18BlockScanAlgorithmE0EEN15benchmark_utils11custom_typeIddEELj256ELj1ELj100EEvPKT0_PS7_S7_
; %bb.0:
	s_load_dwordx8 s[20:27], s[0:1], 0x0
	s_load_dword s3, s[0:1], 0x2c
	v_mov_b32_e32 v11, 0
	v_mbcnt_lo_u32_b32 v1, -1, 0
	v_mbcnt_hi_u32_b32 v1, -1, v1
	s_waitcnt lgkmcnt(0)
	v_mov_b32_e32 v2, s20
	s_and_b32 s0, s3, 0xffff
	s_mul_i32 s2, s2, s0
	v_mov_b32_e32 v3, s21
	v_add_u32_e32 v10, s2, v0
	v_lshl_add_u64 v[2:3], v[10:11], 4, v[2:3]
	global_load_dwordx4 v[2:5], v[2:3], off
	v_and_b32_e32 v6, 15, v1
	v_cmp_ne_u32_e32 vcc, 0, v6
	v_cmp_lt_u32_e64 s[0:1], 1, v6
	v_cmp_lt_u32_e64 s[2:3], 3, v6
	;; [unrolled: 1-line block ×3, first 2 shown]
	v_and_b32_e32 v6, 16, v1
	v_cmp_ne_u32_e64 s[6:7], 0, v6
	v_or_b32_e32 v6, 63, v0
	v_cmp_eq_u32_e64 s[10:11], v6, v0
	v_add_u32_e32 v6, -1, v1
	v_and_b32_e32 v7, 64, v1
	v_cmp_lt_i32_e64 s[16:17], v6, v7
	v_cmp_gt_u32_e64 s[12:13], 4, v0
	v_cmp_lt_u32_e64 s[14:15], 63, v0
	v_cndmask_b32_e64 v6, v6, v1, s[16:17]
	v_lshlrev_b32_e32 v14, 2, v6
	v_lshrrev_b32_e32 v6, 2, v0
	v_and_b32_e32 v15, 48, v6
	v_lshlrev_b32_e32 v16, 4, v0
	v_and_b32_e32 v0, 3, v1
	v_cmp_lt_u32_e64 s[8:9], 31, v1
	v_cmp_eq_u32_e64 s[16:17], 0, v1
	v_cmp_ne_u32_e64 s[18:19], 0, v0
	v_cmp_lt_u32_e64 s[20:21], 1, v0
	v_add_u32_e32 v17, -16, v15
	s_movk_i32 s33, 0x64
	s_branch .LBB213_2
.LBB213_1:                              ;   in Loop: Header=BB213_2 Depth=1
	s_or_b64 exec, exec, s[28:29]
	v_add_f64 v[0:1], v[2:3], v[6:7]
	v_add_f64 v[2:3], v[4:5], v[8:9]
	ds_bpermute_b32 v3, v14, v3
	ds_bpermute_b32 v2, v14, v2
	;; [unrolled: 1-line block ×4, first 2 shown]
	s_add_i32 s33, s33, -1
	s_waitcnt lgkmcnt(3)
	v_cndmask_b32_e64 v5, v3, v9, s[16:17]
	s_waitcnt lgkmcnt(2)
	v_cndmask_b32_e64 v4, v2, v8, s[16:17]
	;; [unrolled: 2-line block ×3, first 2 shown]
	s_cmp_lg_u32 s33, 0
	s_waitcnt lgkmcnt(0)
	v_cndmask_b32_e64 v2, v0, v6, s[16:17]
	s_cbranch_scc0 .LBB213_24
.LBB213_2:                              ; =>This Inner Loop Header: Depth=1
	s_waitcnt vmcnt(0)
	v_mov_b32_dpp v0, v2 row_shr:1 row_mask:0xf bank_mask:0xf
	v_mov_b32_dpp v1, v3 row_shr:1 row_mask:0xf bank_mask:0xf
	;; [unrolled: 1-line block ×4, first 2 shown]
	s_and_saveexec_b64 s[28:29], vcc
; %bb.3:                                ;   in Loop: Header=BB213_2 Depth=1
	v_add_f64 v[4:5], v[4:5], v[6:7]
	v_add_f64 v[2:3], v[2:3], v[0:1]
; %bb.4:                                ;   in Loop: Header=BB213_2 Depth=1
	s_or_b64 exec, exec, s[28:29]
	s_nop 0
	v_mov_b32_dpp v0, v2 row_shr:2 row_mask:0xf bank_mask:0xf
	v_mov_b32_dpp v1, v3 row_shr:2 row_mask:0xf bank_mask:0xf
	v_mov_b32_dpp v6, v4 row_shr:2 row_mask:0xf bank_mask:0xf
	v_mov_b32_dpp v7, v5 row_shr:2 row_mask:0xf bank_mask:0xf
	s_and_saveexec_b64 s[28:29], s[0:1]
; %bb.5:                                ;   in Loop: Header=BB213_2 Depth=1
	v_add_f64 v[4:5], v[4:5], v[6:7]
	v_add_f64 v[2:3], v[2:3], v[0:1]
; %bb.6:                                ;   in Loop: Header=BB213_2 Depth=1
	s_or_b64 exec, exec, s[28:29]
	s_nop 0
	v_mov_b32_dpp v0, v2 row_shr:4 row_mask:0xf bank_mask:0xf
	v_mov_b32_dpp v1, v3 row_shr:4 row_mask:0xf bank_mask:0xf
	v_mov_b32_dpp v6, v4 row_shr:4 row_mask:0xf bank_mask:0xf
	v_mov_b32_dpp v7, v5 row_shr:4 row_mask:0xf bank_mask:0xf
	s_and_saveexec_b64 s[28:29], s[2:3]
	;; [unrolled: 11-line block ×3, first 2 shown]
; %bb.9:                                ;   in Loop: Header=BB213_2 Depth=1
	v_add_f64 v[4:5], v[4:5], v[6:7]
	v_add_f64 v[2:3], v[2:3], v[0:1]
; %bb.10:                               ;   in Loop: Header=BB213_2 Depth=1
	s_or_b64 exec, exec, s[28:29]
	s_nop 0
	v_mov_b32_dpp v0, v2 row_bcast:15 row_mask:0xf bank_mask:0xf
	v_mov_b32_dpp v1, v3 row_bcast:15 row_mask:0xf bank_mask:0xf
	;; [unrolled: 1-line block ×4, first 2 shown]
	s_and_saveexec_b64 s[28:29], s[6:7]
; %bb.11:                               ;   in Loop: Header=BB213_2 Depth=1
	v_add_f64 v[4:5], v[4:5], v[6:7]
	v_add_f64 v[2:3], v[2:3], v[0:1]
; %bb.12:                               ;   in Loop: Header=BB213_2 Depth=1
	s_or_b64 exec, exec, s[28:29]
	s_nop 0
	v_mov_b32_dpp v0, v2 row_bcast:31 row_mask:0xf bank_mask:0xf
	v_mov_b32_dpp v1, v3 row_bcast:31 row_mask:0xf bank_mask:0xf
	;; [unrolled: 1-line block ×4, first 2 shown]
	s_and_saveexec_b64 s[28:29], s[8:9]
; %bb.13:                               ;   in Loop: Header=BB213_2 Depth=1
	v_add_f64 v[4:5], v[4:5], v[6:7]
	v_add_f64 v[2:3], v[2:3], v[0:1]
; %bb.14:                               ;   in Loop: Header=BB213_2 Depth=1
	s_or_b64 exec, exec, s[28:29]
	s_and_saveexec_b64 s[28:29], s[10:11]
	s_cbranch_execz .LBB213_16
; %bb.15:                               ;   in Loop: Header=BB213_2 Depth=1
	ds_write2_b64 v15, v[2:3], v[4:5] offset1:1
.LBB213_16:                             ;   in Loop: Header=BB213_2 Depth=1
	s_or_b64 exec, exec, s[28:29]
	s_waitcnt lgkmcnt(0)
	s_barrier
	s_and_saveexec_b64 s[28:29], s[12:13]
	s_cbranch_execz .LBB213_22
; %bb.17:                               ;   in Loop: Header=BB213_2 Depth=1
	ds_read2_b64 v[6:9], v16 offset1:1
	s_waitcnt lgkmcnt(0)
	s_nop 0
	v_mov_b32_dpp v0, v6 row_shr:1 row_mask:0xf bank_mask:0xf
	v_mov_b32_dpp v1, v7 row_shr:1 row_mask:0xf bank_mask:0xf
	;; [unrolled: 1-line block ×4, first 2 shown]
	s_and_saveexec_b64 s[30:31], s[18:19]
; %bb.18:                               ;   in Loop: Header=BB213_2 Depth=1
	v_add_f64 v[8:9], v[8:9], v[12:13]
	v_add_f64 v[6:7], v[6:7], v[0:1]
; %bb.19:                               ;   in Loop: Header=BB213_2 Depth=1
	s_or_b64 exec, exec, s[30:31]
	s_nop 0
	v_mov_b32_dpp v0, v6 row_shr:2 row_mask:0xf bank_mask:0xf
	v_mov_b32_dpp v1, v7 row_shr:2 row_mask:0xf bank_mask:0xf
	;; [unrolled: 1-line block ×4, first 2 shown]
	s_and_saveexec_b64 s[30:31], s[20:21]
; %bb.20:                               ;   in Loop: Header=BB213_2 Depth=1
	v_add_f64 v[8:9], v[8:9], v[12:13]
	v_add_f64 v[6:7], v[6:7], v[0:1]
; %bb.21:                               ;   in Loop: Header=BB213_2 Depth=1
	s_or_b64 exec, exec, s[30:31]
	ds_write2_b64 v16, v[6:7], v[8:9] offset1:1
.LBB213_22:                             ;   in Loop: Header=BB213_2 Depth=1
	s_or_b64 exec, exec, s[28:29]
	v_mov_b64_e32 v[6:7], s[24:25]
	v_mov_b64_e32 v[8:9], s[26:27]
	s_waitcnt lgkmcnt(0)
	s_barrier
	s_and_saveexec_b64 s[28:29], s[14:15]
	s_cbranch_execz .LBB213_1
; %bb.23:                               ;   in Loop: Header=BB213_2 Depth=1
	ds_read2_b64 v[6:9], v17 offset1:1
	s_waitcnt lgkmcnt(0)
	v_add_f64 v[8:9], s[26:27], v[8:9]
	v_add_f64 v[6:7], s[24:25], v[6:7]
	s_branch .LBB213_1
.LBB213_24:
	v_mov_b32_e32 v0, s22
	v_mov_b32_e32 v1, s23
	v_lshl_add_u64 v[0:1], v[10:11], 4, v[0:1]
	global_store_dwordx4 v[0:1], v[2:5], off
	s_endpgm
	.section	.rodata,"a",@progbits
	.p2align	6, 0x0
	.amdhsa_kernel _Z6kernelI14exclusive_scanILN6hipcub18BlockScanAlgorithmE0EEN15benchmark_utils11custom_typeIddEELj256ELj1ELj100EEvPKT0_PS7_S7_
		.amdhsa_group_segment_fixed_size 64
		.amdhsa_private_segment_fixed_size 0
		.amdhsa_kernarg_size 288
		.amdhsa_user_sgpr_count 2
		.amdhsa_user_sgpr_dispatch_ptr 0
		.amdhsa_user_sgpr_queue_ptr 0
		.amdhsa_user_sgpr_kernarg_segment_ptr 1
		.amdhsa_user_sgpr_dispatch_id 0
		.amdhsa_user_sgpr_kernarg_preload_length 0
		.amdhsa_user_sgpr_kernarg_preload_offset 0
		.amdhsa_user_sgpr_private_segment_size 0
		.amdhsa_uses_dynamic_stack 0
		.amdhsa_enable_private_segment 0
		.amdhsa_system_sgpr_workgroup_id_x 1
		.amdhsa_system_sgpr_workgroup_id_y 0
		.amdhsa_system_sgpr_workgroup_id_z 0
		.amdhsa_system_sgpr_workgroup_info 0
		.amdhsa_system_vgpr_workitem_id 0
		.amdhsa_next_free_vgpr 18
		.amdhsa_next_free_sgpr 34
		.amdhsa_accum_offset 20
		.amdhsa_reserve_vcc 1
		.amdhsa_float_round_mode_32 0
		.amdhsa_float_round_mode_16_64 0
		.amdhsa_float_denorm_mode_32 3
		.amdhsa_float_denorm_mode_16_64 3
		.amdhsa_dx10_clamp 1
		.amdhsa_ieee_mode 1
		.amdhsa_fp16_overflow 0
		.amdhsa_tg_split 0
		.amdhsa_exception_fp_ieee_invalid_op 0
		.amdhsa_exception_fp_denorm_src 0
		.amdhsa_exception_fp_ieee_div_zero 0
		.amdhsa_exception_fp_ieee_overflow 0
		.amdhsa_exception_fp_ieee_underflow 0
		.amdhsa_exception_fp_ieee_inexact 0
		.amdhsa_exception_int_div_zero 0
	.end_amdhsa_kernel
	.section	.text._Z6kernelI14exclusive_scanILN6hipcub18BlockScanAlgorithmE0EEN15benchmark_utils11custom_typeIddEELj256ELj1ELj100EEvPKT0_PS7_S7_,"axG",@progbits,_Z6kernelI14exclusive_scanILN6hipcub18BlockScanAlgorithmE0EEN15benchmark_utils11custom_typeIddEELj256ELj1ELj100EEvPKT0_PS7_S7_,comdat
.Lfunc_end213:
	.size	_Z6kernelI14exclusive_scanILN6hipcub18BlockScanAlgorithmE0EEN15benchmark_utils11custom_typeIddEELj256ELj1ELj100EEvPKT0_PS7_S7_, .Lfunc_end213-_Z6kernelI14exclusive_scanILN6hipcub18BlockScanAlgorithmE0EEN15benchmark_utils11custom_typeIddEELj256ELj1ELj100EEvPKT0_PS7_S7_
                                        ; -- End function
	.section	.AMDGPU.csdata,"",@progbits
; Kernel info:
; codeLenInByte = 976
; NumSgprs: 40
; NumVgprs: 18
; NumAgprs: 0
; TotalNumVgprs: 18
; ScratchSize: 0
; MemoryBound: 0
; FloatMode: 240
; IeeeMode: 1
; LDSByteSize: 64 bytes/workgroup (compile time only)
; SGPRBlocks: 4
; VGPRBlocks: 2
; NumSGPRsForWavesPerEU: 40
; NumVGPRsForWavesPerEU: 18
; AccumOffset: 20
; Occupancy: 8
; WaveLimiterHint : 0
; COMPUTE_PGM_RSRC2:SCRATCH_EN: 0
; COMPUTE_PGM_RSRC2:USER_SGPR: 2
; COMPUTE_PGM_RSRC2:TRAP_HANDLER: 0
; COMPUTE_PGM_RSRC2:TGID_X_EN: 1
; COMPUTE_PGM_RSRC2:TGID_Y_EN: 0
; COMPUTE_PGM_RSRC2:TGID_Z_EN: 0
; COMPUTE_PGM_RSRC2:TIDIG_COMP_CNT: 0
; COMPUTE_PGM_RSRC3_GFX90A:ACCUM_OFFSET: 4
; COMPUTE_PGM_RSRC3_GFX90A:TG_SPLIT: 0
	.section	.text._Z6kernelI14exclusive_scanILN6hipcub18BlockScanAlgorithmE0EEN15benchmark_utils11custom_typeIddEELj256ELj4ELj100EEvPKT0_PS7_S7_,"axG",@progbits,_Z6kernelI14exclusive_scanILN6hipcub18BlockScanAlgorithmE0EEN15benchmark_utils11custom_typeIddEELj256ELj4ELj100EEvPKT0_PS7_S7_,comdat
	.protected	_Z6kernelI14exclusive_scanILN6hipcub18BlockScanAlgorithmE0EEN15benchmark_utils11custom_typeIddEELj256ELj4ELj100EEvPKT0_PS7_S7_ ; -- Begin function _Z6kernelI14exclusive_scanILN6hipcub18BlockScanAlgorithmE0EEN15benchmark_utils11custom_typeIddEELj256ELj4ELj100EEvPKT0_PS7_S7_
	.globl	_Z6kernelI14exclusive_scanILN6hipcub18BlockScanAlgorithmE0EEN15benchmark_utils11custom_typeIddEELj256ELj4ELj100EEvPKT0_PS7_S7_
	.p2align	8
	.type	_Z6kernelI14exclusive_scanILN6hipcub18BlockScanAlgorithmE0EEN15benchmark_utils11custom_typeIddEELj256ELj4ELj100EEvPKT0_PS7_S7_,@function
_Z6kernelI14exclusive_scanILN6hipcub18BlockScanAlgorithmE0EEN15benchmark_utils11custom_typeIddEELj256ELj4ELj100EEvPKT0_PS7_S7_: ; @_Z6kernelI14exclusive_scanILN6hipcub18BlockScanAlgorithmE0EEN15benchmark_utils11custom_typeIddEELj256ELj4ELj100EEvPKT0_PS7_S7_
; %bb.0:
	s_load_dwordx8 s[24:31], s[0:1], 0x0
	s_load_dword s3, s[0:1], 0x2c
	v_mov_b32_e32 v23, 0
	v_mbcnt_lo_u32_b32 v1, -1, 0
	v_mbcnt_hi_u32_b32 v1, -1, v1
	s_waitcnt lgkmcnt(0)
	v_mov_b32_e32 v2, s24
	s_and_b32 s0, s3, 0xffff
	s_mul_i32 s2, s2, s0
	v_mov_b32_e32 v3, s25
	v_add_lshl_u32 v22, s2, v0, 2
	v_lshl_add_u64 v[18:19], v[22:23], 4, v[2:3]
	global_load_dwordx4 v[14:17], v[18:19], off offset:48
	global_load_dwordx4 v[2:5], v[18:19], off offset:32
	;; [unrolled: 1-line block ×3, first 2 shown]
	global_load_dwordx4 v[10:13], v[18:19], off
	v_and_b32_e32 v18, 15, v1
	v_cmp_ne_u32_e32 vcc, 0, v18
	v_cmp_lt_u32_e64 s[0:1], 1, v18
	v_cmp_lt_u32_e64 s[2:3], 3, v18
	;; [unrolled: 1-line block ×3, first 2 shown]
	v_and_b32_e32 v18, 16, v1
	v_cmp_ne_u32_e64 s[6:7], 0, v18
	v_or_b32_e32 v18, 63, v0
	v_cmp_eq_u32_e64 s[10:11], v18, v0
	v_add_u32_e32 v18, -1, v1
	v_and_b32_e32 v19, 64, v1
	v_cmp_lt_i32_e64 s[16:17], v18, v19
	v_cmp_gt_u32_e64 s[12:13], 4, v0
	v_cmp_lt_u32_e64 s[14:15], 63, v0
	v_cndmask_b32_e64 v18, v18, v1, s[16:17]
	v_lshlrev_b32_e32 v26, 2, v18
	v_lshrrev_b32_e32 v18, 2, v0
	v_cmp_eq_u32_e64 s[18:19], 0, v0
	v_and_b32_e32 v27, 48, v18
	v_lshlrev_b32_e32 v28, 4, v0
	v_and_b32_e32 v0, 3, v1
	v_cmp_lt_u32_e64 s[8:9], 31, v1
	v_cmp_eq_u32_e64 s[16:17], 0, v1
	v_cmp_ne_u32_e64 s[20:21], 0, v0
	v_cmp_lt_u32_e64 s[22:23], 1, v0
	v_add_u32_e32 v29, -16, v27
	s_movk_i32 s33, 0x64
.LBB214_1:                              ; =>This Inner Loop Header: Depth=1
	s_waitcnt vmcnt(0)
	v_add_f64 v[0:1], v[6:7], v[10:11]
	v_add_f64 v[18:19], v[8:9], v[12:13]
	;; [unrolled: 1-line block ×6, first 2 shown]
	s_nop 0
	v_mov_b32_dpp v14, v0 row_shr:1 row_mask:0xf bank_mask:0xf
	v_mov_b32_dpp v15, v1 row_shr:1 row_mask:0xf bank_mask:0xf
	;; [unrolled: 1-line block ×4, first 2 shown]
	s_and_saveexec_b64 s[24:25], vcc
; %bb.2:                                ;   in Loop: Header=BB214_1 Depth=1
	v_add_f64 v[18:19], v[18:19], v[16:17]
	v_add_f64 v[0:1], v[0:1], v[14:15]
; %bb.3:                                ;   in Loop: Header=BB214_1 Depth=1
	s_or_b64 exec, exec, s[24:25]
	s_nop 0
	v_mov_b32_dpp v14, v0 row_shr:2 row_mask:0xf bank_mask:0xf
	v_mov_b32_dpp v15, v1 row_shr:2 row_mask:0xf bank_mask:0xf
	v_mov_b32_dpp v16, v18 row_shr:2 row_mask:0xf bank_mask:0xf
	v_mov_b32_dpp v17, v19 row_shr:2 row_mask:0xf bank_mask:0xf
	s_and_saveexec_b64 s[24:25], s[0:1]
; %bb.4:                                ;   in Loop: Header=BB214_1 Depth=1
	v_add_f64 v[18:19], v[18:19], v[16:17]
	v_add_f64 v[0:1], v[0:1], v[14:15]
; %bb.5:                                ;   in Loop: Header=BB214_1 Depth=1
	s_or_b64 exec, exec, s[24:25]
	s_nop 0
	v_mov_b32_dpp v14, v0 row_shr:4 row_mask:0xf bank_mask:0xf
	v_mov_b32_dpp v15, v1 row_shr:4 row_mask:0xf bank_mask:0xf
	v_mov_b32_dpp v16, v18 row_shr:4 row_mask:0xf bank_mask:0xf
	v_mov_b32_dpp v17, v19 row_shr:4 row_mask:0xf bank_mask:0xf
	s_and_saveexec_b64 s[24:25], s[2:3]
	;; [unrolled: 11-line block ×3, first 2 shown]
; %bb.8:                                ;   in Loop: Header=BB214_1 Depth=1
	v_add_f64 v[18:19], v[18:19], v[16:17]
	v_add_f64 v[0:1], v[0:1], v[14:15]
; %bb.9:                                ;   in Loop: Header=BB214_1 Depth=1
	s_or_b64 exec, exec, s[24:25]
	s_nop 0
	v_mov_b32_dpp v14, v0 row_bcast:15 row_mask:0xf bank_mask:0xf
	v_mov_b32_dpp v15, v1 row_bcast:15 row_mask:0xf bank_mask:0xf
	;; [unrolled: 1-line block ×4, first 2 shown]
	s_and_saveexec_b64 s[24:25], s[6:7]
; %bb.10:                               ;   in Loop: Header=BB214_1 Depth=1
	v_add_f64 v[18:19], v[18:19], v[16:17]
	v_add_f64 v[0:1], v[0:1], v[14:15]
; %bb.11:                               ;   in Loop: Header=BB214_1 Depth=1
	s_or_b64 exec, exec, s[24:25]
	s_nop 0
	v_mov_b32_dpp v14, v0 row_bcast:31 row_mask:0xf bank_mask:0xf
	v_mov_b32_dpp v15, v1 row_bcast:31 row_mask:0xf bank_mask:0xf
	;; [unrolled: 1-line block ×4, first 2 shown]
	s_and_saveexec_b64 s[24:25], s[8:9]
; %bb.12:                               ;   in Loop: Header=BB214_1 Depth=1
	v_add_f64 v[18:19], v[18:19], v[16:17]
	v_add_f64 v[0:1], v[0:1], v[14:15]
; %bb.13:                               ;   in Loop: Header=BB214_1 Depth=1
	s_or_b64 exec, exec, s[24:25]
	s_and_saveexec_b64 s[24:25], s[10:11]
	s_cbranch_execz .LBB214_15
; %bb.14:                               ;   in Loop: Header=BB214_1 Depth=1
	ds_write2_b64 v27, v[0:1], v[18:19] offset1:1
.LBB214_15:                             ;   in Loop: Header=BB214_1 Depth=1
	s_or_b64 exec, exec, s[24:25]
	s_waitcnt lgkmcnt(0)
	s_barrier
	s_and_saveexec_b64 s[24:25], s[12:13]
	s_cbranch_execz .LBB214_21
; %bb.16:                               ;   in Loop: Header=BB214_1 Depth=1
	ds_read2_b64 v[14:17], v28 offset1:1
	s_waitcnt lgkmcnt(0)
	s_nop 0
	v_mov_b32_dpp v20, v14 row_shr:1 row_mask:0xf bank_mask:0xf
	v_mov_b32_dpp v21, v15 row_shr:1 row_mask:0xf bank_mask:0xf
	;; [unrolled: 1-line block ×4, first 2 shown]
	s_and_saveexec_b64 s[34:35], s[20:21]
; %bb.17:                               ;   in Loop: Header=BB214_1 Depth=1
	v_add_f64 v[16:17], v[16:17], v[24:25]
	v_add_f64 v[14:15], v[14:15], v[20:21]
; %bb.18:                               ;   in Loop: Header=BB214_1 Depth=1
	s_or_b64 exec, exec, s[34:35]
	s_nop 0
	v_mov_b32_dpp v20, v14 row_shr:2 row_mask:0xf bank_mask:0xf
	v_mov_b32_dpp v21, v15 row_shr:2 row_mask:0xf bank_mask:0xf
	;; [unrolled: 1-line block ×4, first 2 shown]
	s_and_saveexec_b64 s[34:35], s[22:23]
; %bb.19:                               ;   in Loop: Header=BB214_1 Depth=1
	v_add_f64 v[16:17], v[16:17], v[24:25]
	v_add_f64 v[14:15], v[14:15], v[20:21]
; %bb.20:                               ;   in Loop: Header=BB214_1 Depth=1
	s_or_b64 exec, exec, s[34:35]
	ds_write2_b64 v28, v[14:15], v[16:17] offset1:1
.LBB214_21:                             ;   in Loop: Header=BB214_1 Depth=1
	s_or_b64 exec, exec, s[24:25]
	v_mov_b64_e32 v[14:15], s[28:29]
	v_mov_b64_e32 v[16:17], s[30:31]
	s_waitcnt lgkmcnt(0)
	s_barrier
	s_and_saveexec_b64 s[24:25], s[14:15]
	s_cbranch_execz .LBB214_23
; %bb.22:                               ;   in Loop: Header=BB214_1 Depth=1
	ds_read2_b64 v[14:17], v29 offset1:1
	s_waitcnt lgkmcnt(0)
	v_add_f64 v[14:15], s[28:29], v[14:15]
	v_add_f64 v[16:17], s[30:31], v[16:17]
.LBB214_23:                             ;   in Loop: Header=BB214_1 Depth=1
	s_or_b64 exec, exec, s[24:25]
	v_add_f64 v[0:1], v[0:1], v[14:15]
	v_add_f64 v[18:19], v[18:19], v[16:17]
	ds_bpermute_b32 v0, v26, v0
	ds_bpermute_b32 v1, v26, v1
	ds_bpermute_b32 v18, v26, v18
	ds_bpermute_b32 v19, v26, v19
	s_add_i32 s33, s33, -1
	s_waitcnt lgkmcnt(3)
	v_cndmask_b32_e64 v0, v0, v14, s[16:17]
	s_waitcnt lgkmcnt(2)
	v_cndmask_b32_e64 v1, v1, v15, s[16:17]
	;; [unrolled: 2-line block ×4, first 2 shown]
	v_mov_b32_e32 v16, s31
	v_cndmask_b32_e64 v21, v15, v16, s[18:19]
	v_mov_b32_e32 v15, s30
	v_cndmask_b32_e64 v20, v14, v15, s[18:19]
	;; [unrolled: 2-line block ×4, first 2 shown]
	v_add_f64 v[10:11], v[10:11], v[18:19]
	v_add_f64 v[12:13], v[12:13], v[20:21]
	;; [unrolled: 1-line block ×5, first 2 shown]
	s_cmp_lg_u32 s33, 0
	v_add_f64 v[16:17], v[4:5], v[8:9]
	s_cbranch_scc0 .LBB214_25
; %bb.24:                               ;   in Loop: Header=BB214_1 Depth=1
	v_mov_b64_e32 v[4:5], v[8:9]
	v_mov_b64_e32 v[2:3], v[6:7]
	;; [unrolled: 1-line block ×6, first 2 shown]
	s_branch .LBB214_1
.LBB214_25:
	v_mov_b32_e32 v0, s26
	v_mov_b32_e32 v1, s27
	v_lshl_add_u64 v[0:1], v[22:23], 4, v[0:1]
	global_store_dwordx4 v[0:1], v[18:21], off
	global_store_dwordx4 v[0:1], v[10:13], off offset:16
	global_store_dwordx4 v[0:1], v[6:9], off offset:32
	;; [unrolled: 1-line block ×3, first 2 shown]
	s_endpgm
	.section	.rodata,"a",@progbits
	.p2align	6, 0x0
	.amdhsa_kernel _Z6kernelI14exclusive_scanILN6hipcub18BlockScanAlgorithmE0EEN15benchmark_utils11custom_typeIddEELj256ELj4ELj100EEvPKT0_PS7_S7_
		.amdhsa_group_segment_fixed_size 64
		.amdhsa_private_segment_fixed_size 0
		.amdhsa_kernarg_size 288
		.amdhsa_user_sgpr_count 2
		.amdhsa_user_sgpr_dispatch_ptr 0
		.amdhsa_user_sgpr_queue_ptr 0
		.amdhsa_user_sgpr_kernarg_segment_ptr 1
		.amdhsa_user_sgpr_dispatch_id 0
		.amdhsa_user_sgpr_kernarg_preload_length 0
		.amdhsa_user_sgpr_kernarg_preload_offset 0
		.amdhsa_user_sgpr_private_segment_size 0
		.amdhsa_uses_dynamic_stack 0
		.amdhsa_enable_private_segment 0
		.amdhsa_system_sgpr_workgroup_id_x 1
		.amdhsa_system_sgpr_workgroup_id_y 0
		.amdhsa_system_sgpr_workgroup_id_z 0
		.amdhsa_system_sgpr_workgroup_info 0
		.amdhsa_system_vgpr_workitem_id 0
		.amdhsa_next_free_vgpr 30
		.amdhsa_next_free_sgpr 36
		.amdhsa_accum_offset 32
		.amdhsa_reserve_vcc 1
		.amdhsa_float_round_mode_32 0
		.amdhsa_float_round_mode_16_64 0
		.amdhsa_float_denorm_mode_32 3
		.amdhsa_float_denorm_mode_16_64 3
		.amdhsa_dx10_clamp 1
		.amdhsa_ieee_mode 1
		.amdhsa_fp16_overflow 0
		.amdhsa_tg_split 0
		.amdhsa_exception_fp_ieee_invalid_op 0
		.amdhsa_exception_fp_denorm_src 0
		.amdhsa_exception_fp_ieee_div_zero 0
		.amdhsa_exception_fp_ieee_overflow 0
		.amdhsa_exception_fp_ieee_underflow 0
		.amdhsa_exception_fp_ieee_inexact 0
		.amdhsa_exception_int_div_zero 0
	.end_amdhsa_kernel
	.section	.text._Z6kernelI14exclusive_scanILN6hipcub18BlockScanAlgorithmE0EEN15benchmark_utils11custom_typeIddEELj256ELj4ELj100EEvPKT0_PS7_S7_,"axG",@progbits,_Z6kernelI14exclusive_scanILN6hipcub18BlockScanAlgorithmE0EEN15benchmark_utils11custom_typeIddEELj256ELj4ELj100EEvPKT0_PS7_S7_,comdat
.Lfunc_end214:
	.size	_Z6kernelI14exclusive_scanILN6hipcub18BlockScanAlgorithmE0EEN15benchmark_utils11custom_typeIddEELj256ELj4ELj100EEvPKT0_PS7_S7_, .Lfunc_end214-_Z6kernelI14exclusive_scanILN6hipcub18BlockScanAlgorithmE0EEN15benchmark_utils11custom_typeIddEELj256ELj4ELj100EEvPKT0_PS7_S7_
                                        ; -- End function
	.section	.AMDGPU.csdata,"",@progbits
; Kernel info:
; codeLenInByte = 1204
; NumSgprs: 42
; NumVgprs: 30
; NumAgprs: 0
; TotalNumVgprs: 30
; ScratchSize: 0
; MemoryBound: 0
; FloatMode: 240
; IeeeMode: 1
; LDSByteSize: 64 bytes/workgroup (compile time only)
; SGPRBlocks: 5
; VGPRBlocks: 3
; NumSGPRsForWavesPerEU: 42
; NumVGPRsForWavesPerEU: 30
; AccumOffset: 32
; Occupancy: 8
; WaveLimiterHint : 0
; COMPUTE_PGM_RSRC2:SCRATCH_EN: 0
; COMPUTE_PGM_RSRC2:USER_SGPR: 2
; COMPUTE_PGM_RSRC2:TRAP_HANDLER: 0
; COMPUTE_PGM_RSRC2:TGID_X_EN: 1
; COMPUTE_PGM_RSRC2:TGID_Y_EN: 0
; COMPUTE_PGM_RSRC2:TGID_Z_EN: 0
; COMPUTE_PGM_RSRC2:TIDIG_COMP_CNT: 0
; COMPUTE_PGM_RSRC3_GFX90A:ACCUM_OFFSET: 7
; COMPUTE_PGM_RSRC3_GFX90A:TG_SPLIT: 0
	.section	.text._Z6kernelI14exclusive_scanILN6hipcub18BlockScanAlgorithmE0EEN15benchmark_utils11custom_typeIddEELj256ELj8ELj100EEvPKT0_PS7_S7_,"axG",@progbits,_Z6kernelI14exclusive_scanILN6hipcub18BlockScanAlgorithmE0EEN15benchmark_utils11custom_typeIddEELj256ELj8ELj100EEvPKT0_PS7_S7_,comdat
	.protected	_Z6kernelI14exclusive_scanILN6hipcub18BlockScanAlgorithmE0EEN15benchmark_utils11custom_typeIddEELj256ELj8ELj100EEvPKT0_PS7_S7_ ; -- Begin function _Z6kernelI14exclusive_scanILN6hipcub18BlockScanAlgorithmE0EEN15benchmark_utils11custom_typeIddEELj256ELj8ELj100EEvPKT0_PS7_S7_
	.globl	_Z6kernelI14exclusive_scanILN6hipcub18BlockScanAlgorithmE0EEN15benchmark_utils11custom_typeIddEELj256ELj8ELj100EEvPKT0_PS7_S7_
	.p2align	8
	.type	_Z6kernelI14exclusive_scanILN6hipcub18BlockScanAlgorithmE0EEN15benchmark_utils11custom_typeIddEELj256ELj8ELj100EEvPKT0_PS7_S7_,@function
_Z6kernelI14exclusive_scanILN6hipcub18BlockScanAlgorithmE0EEN15benchmark_utils11custom_typeIddEELj256ELj8ELj100EEvPKT0_PS7_S7_: ; @_Z6kernelI14exclusive_scanILN6hipcub18BlockScanAlgorithmE0EEN15benchmark_utils11custom_typeIddEELj256ELj8ELj100EEvPKT0_PS7_S7_
; %bb.0:
	s_load_dwordx8 s[24:31], s[0:1], 0x0
	s_load_dword s3, s[0:1], 0x2c
	v_mov_b32_e32 v47, 0
	v_mbcnt_lo_u32_b32 v1, -1, 0
	v_mbcnt_hi_u32_b32 v1, -1, v1
	s_waitcnt lgkmcnt(0)
	v_mov_b32_e32 v2, s24
	s_and_b32 s0, s3, 0xffff
	s_mul_i32 s2, s2, s0
	v_mov_b32_e32 v3, s25
	v_add_lshl_u32 v46, s2, v0, 3
	v_lshl_add_u64 v[34:35], v[46:47], 4, v[2:3]
	global_load_dwordx4 v[2:5], v[34:35], off offset:48
	global_load_dwordx4 v[6:9], v[34:35], off offset:32
	;; [unrolled: 1-line block ×3, first 2 shown]
	global_load_dwordx4 v[14:17], v[34:35], off
	global_load_dwordx4 v[30:33], v[34:35], off offset:112
	global_load_dwordx4 v[18:21], v[34:35], off offset:96
	;; [unrolled: 1-line block ×4, first 2 shown]
	v_and_b32_e32 v34, 15, v1
	v_cmp_ne_u32_e32 vcc, 0, v34
	v_cmp_lt_u32_e64 s[0:1], 1, v34
	v_cmp_lt_u32_e64 s[2:3], 3, v34
	;; [unrolled: 1-line block ×3, first 2 shown]
	v_and_b32_e32 v34, 16, v1
	v_cmp_ne_u32_e64 s[6:7], 0, v34
	v_or_b32_e32 v34, 63, v0
	v_cmp_eq_u32_e64 s[10:11], v34, v0
	v_add_u32_e32 v34, -1, v1
	v_and_b32_e32 v35, 64, v1
	v_cmp_lt_i32_e64 s[16:17], v34, v35
	v_cmp_gt_u32_e64 s[12:13], 4, v0
	v_cmp_lt_u32_e64 s[14:15], 63, v0
	v_cndmask_b32_e64 v34, v34, v1, s[16:17]
	v_lshlrev_b32_e32 v48, 2, v34
	v_lshrrev_b32_e32 v34, 2, v0
	v_cmp_eq_u32_e64 s[18:19], 0, v0
	v_and_b32_e32 v49, 48, v34
	v_lshlrev_b32_e32 v50, 4, v0
	v_and_b32_e32 v0, 3, v1
	v_cmp_lt_u32_e64 s[8:9], 31, v1
	v_cmp_eq_u32_e64 s[16:17], 0, v1
	v_cmp_ne_u32_e64 s[20:21], 0, v0
	v_cmp_lt_u32_e64 s[22:23], 1, v0
	v_add_u32_e32 v51, -16, v49
	s_movk_i32 s33, 0x64
.LBB215_1:                              ; =>This Inner Loop Header: Depth=1
	s_waitcnt vmcnt(4)
	v_add_f64 v[0:1], v[10:11], v[14:15]
	v_add_f64 v[34:35], v[12:13], v[16:17]
	;; [unrolled: 1-line block ×6, first 2 shown]
	s_waitcnt vmcnt(0)
	v_add_f64 v[0:1], v[26:27], v[0:1]
	v_add_f64 v[34:35], v[28:29], v[34:35]
	;; [unrolled: 1-line block ×8, first 2 shown]
	s_nop 0
	v_mov_b32_dpp v30, v0 row_shr:1 row_mask:0xf bank_mask:0xf
	v_mov_b32_dpp v31, v1 row_shr:1 row_mask:0xf bank_mask:0xf
	v_mov_b32_dpp v32, v34 row_shr:1 row_mask:0xf bank_mask:0xf
	v_mov_b32_dpp v33, v35 row_shr:1 row_mask:0xf bank_mask:0xf
	s_and_saveexec_b64 s[24:25], vcc
; %bb.2:                                ;   in Loop: Header=BB215_1 Depth=1
	v_add_f64 v[34:35], v[34:35], v[32:33]
	v_add_f64 v[0:1], v[0:1], v[30:31]
; %bb.3:                                ;   in Loop: Header=BB215_1 Depth=1
	s_or_b64 exec, exec, s[24:25]
	s_nop 0
	v_mov_b32_dpp v30, v0 row_shr:2 row_mask:0xf bank_mask:0xf
	v_mov_b32_dpp v31, v1 row_shr:2 row_mask:0xf bank_mask:0xf
	v_mov_b32_dpp v32, v34 row_shr:2 row_mask:0xf bank_mask:0xf
	v_mov_b32_dpp v33, v35 row_shr:2 row_mask:0xf bank_mask:0xf
	s_and_saveexec_b64 s[24:25], s[0:1]
; %bb.4:                                ;   in Loop: Header=BB215_1 Depth=1
	v_add_f64 v[34:35], v[34:35], v[32:33]
	v_add_f64 v[0:1], v[0:1], v[30:31]
; %bb.5:                                ;   in Loop: Header=BB215_1 Depth=1
	s_or_b64 exec, exec, s[24:25]
	s_nop 0
	v_mov_b32_dpp v30, v0 row_shr:4 row_mask:0xf bank_mask:0xf
	v_mov_b32_dpp v31, v1 row_shr:4 row_mask:0xf bank_mask:0xf
	v_mov_b32_dpp v32, v34 row_shr:4 row_mask:0xf bank_mask:0xf
	v_mov_b32_dpp v33, v35 row_shr:4 row_mask:0xf bank_mask:0xf
	s_and_saveexec_b64 s[24:25], s[2:3]
	;; [unrolled: 11-line block ×3, first 2 shown]
; %bb.8:                                ;   in Loop: Header=BB215_1 Depth=1
	v_add_f64 v[34:35], v[34:35], v[32:33]
	v_add_f64 v[0:1], v[0:1], v[30:31]
; %bb.9:                                ;   in Loop: Header=BB215_1 Depth=1
	s_or_b64 exec, exec, s[24:25]
	s_nop 0
	v_mov_b32_dpp v30, v0 row_bcast:15 row_mask:0xf bank_mask:0xf
	v_mov_b32_dpp v31, v1 row_bcast:15 row_mask:0xf bank_mask:0xf
	;; [unrolled: 1-line block ×4, first 2 shown]
	s_and_saveexec_b64 s[24:25], s[6:7]
; %bb.10:                               ;   in Loop: Header=BB215_1 Depth=1
	v_add_f64 v[34:35], v[34:35], v[32:33]
	v_add_f64 v[0:1], v[0:1], v[30:31]
; %bb.11:                               ;   in Loop: Header=BB215_1 Depth=1
	s_or_b64 exec, exec, s[24:25]
	s_nop 0
	v_mov_b32_dpp v30, v0 row_bcast:31 row_mask:0xf bank_mask:0xf
	v_mov_b32_dpp v31, v1 row_bcast:31 row_mask:0xf bank_mask:0xf
	v_mov_b32_dpp v32, v34 row_bcast:31 row_mask:0xf bank_mask:0xf
	v_mov_b32_dpp v33, v35 row_bcast:31 row_mask:0xf bank_mask:0xf
	s_and_saveexec_b64 s[24:25], s[8:9]
; %bb.12:                               ;   in Loop: Header=BB215_1 Depth=1
	v_add_f64 v[34:35], v[34:35], v[32:33]
	v_add_f64 v[0:1], v[0:1], v[30:31]
; %bb.13:                               ;   in Loop: Header=BB215_1 Depth=1
	s_or_b64 exec, exec, s[24:25]
	s_and_saveexec_b64 s[24:25], s[10:11]
	s_cbranch_execz .LBB215_15
; %bb.14:                               ;   in Loop: Header=BB215_1 Depth=1
	ds_write2_b64 v49, v[0:1], v[34:35] offset1:1
.LBB215_15:                             ;   in Loop: Header=BB215_1 Depth=1
	s_or_b64 exec, exec, s[24:25]
	s_waitcnt lgkmcnt(0)
	s_barrier
	s_and_saveexec_b64 s[24:25], s[12:13]
	s_cbranch_execz .LBB215_21
; %bb.16:                               ;   in Loop: Header=BB215_1 Depth=1
	ds_read2_b64 v[30:33], v50 offset1:1
	s_waitcnt lgkmcnt(0)
	s_nop 0
	v_mov_b32_dpp v36, v30 row_shr:1 row_mask:0xf bank_mask:0xf
	v_mov_b32_dpp v37, v31 row_shr:1 row_mask:0xf bank_mask:0xf
	v_mov_b32_dpp v38, v32 row_shr:1 row_mask:0xf bank_mask:0xf
	v_mov_b32_dpp v39, v33 row_shr:1 row_mask:0xf bank_mask:0xf
	s_and_saveexec_b64 s[34:35], s[20:21]
; %bb.17:                               ;   in Loop: Header=BB215_1 Depth=1
	v_add_f64 v[32:33], v[32:33], v[38:39]
	v_add_f64 v[30:31], v[30:31], v[36:37]
; %bb.18:                               ;   in Loop: Header=BB215_1 Depth=1
	s_or_b64 exec, exec, s[34:35]
	s_nop 0
	v_mov_b32_dpp v36, v30 row_shr:2 row_mask:0xf bank_mask:0xf
	v_mov_b32_dpp v37, v31 row_shr:2 row_mask:0xf bank_mask:0xf
	;; [unrolled: 1-line block ×4, first 2 shown]
	s_and_saveexec_b64 s[34:35], s[22:23]
; %bb.19:                               ;   in Loop: Header=BB215_1 Depth=1
	v_add_f64 v[32:33], v[32:33], v[38:39]
	v_add_f64 v[30:31], v[30:31], v[36:37]
; %bb.20:                               ;   in Loop: Header=BB215_1 Depth=1
	s_or_b64 exec, exec, s[34:35]
	ds_write2_b64 v50, v[30:31], v[32:33] offset1:1
.LBB215_21:                             ;   in Loop: Header=BB215_1 Depth=1
	s_or_b64 exec, exec, s[24:25]
	v_mov_b64_e32 v[30:31], s[28:29]
	v_mov_b64_e32 v[32:33], s[30:31]
	s_waitcnt lgkmcnt(0)
	s_barrier
	s_and_saveexec_b64 s[24:25], s[14:15]
	s_cbranch_execz .LBB215_23
; %bb.22:                               ;   in Loop: Header=BB215_1 Depth=1
	ds_read2_b64 v[30:33], v51 offset1:1
	s_waitcnt lgkmcnt(0)
	v_add_f64 v[30:31], s[28:29], v[30:31]
	v_add_f64 v[32:33], s[30:31], v[32:33]
.LBB215_23:                             ;   in Loop: Header=BB215_1 Depth=1
	s_or_b64 exec, exec, s[24:25]
	v_add_f64 v[0:1], v[0:1], v[30:31]
	v_add_f64 v[34:35], v[34:35], v[32:33]
	ds_bpermute_b32 v0, v48, v0
	ds_bpermute_b32 v1, v48, v1
	;; [unrolled: 1-line block ×4, first 2 shown]
	s_add_i32 s33, s33, -1
	s_waitcnt lgkmcnt(3)
	v_cndmask_b32_e64 v0, v0, v30, s[16:17]
	s_waitcnt lgkmcnt(2)
	v_cndmask_b32_e64 v1, v1, v31, s[16:17]
	;; [unrolled: 2-line block ×4, first 2 shown]
	v_mov_b32_e32 v32, s31
	v_cndmask_b32_e64 v37, v31, v32, s[18:19]
	v_mov_b32_e32 v31, s30
	v_cndmask_b32_e64 v36, v30, v31, s[18:19]
	;; [unrolled: 2-line block ×4, first 2 shown]
	v_add_f64 v[42:43], v[14:15], v[34:35]
	v_add_f64 v[44:45], v[16:17], v[36:37]
	;; [unrolled: 1-line block ×13, first 2 shown]
	s_cmp_lg_u32 s33, 0
	v_add_f64 v[32:33], v[20:21], v[2:3]
	s_cbranch_scc0 .LBB215_25
; %bb.24:                               ;   in Loop: Header=BB215_1 Depth=1
	v_mov_b64_e32 v[20:21], v[2:3]
	v_mov_b64_e32 v[18:19], v[0:1]
	;; [unrolled: 1-line block ×14, first 2 shown]
	s_branch .LBB215_1
.LBB215_25:
	v_mov_b32_e32 v16, s26
	v_mov_b32_e32 v17, s27
	v_lshl_add_u64 v[16:17], v[46:47], 4, v[16:17]
	global_store_dwordx4 v[16:17], v[34:37], off
	global_store_dwordx4 v[16:17], v[42:45], off offset:16
	global_store_dwordx4 v[16:17], v[38:41], off offset:32
	;; [unrolled: 1-line block ×7, first 2 shown]
	s_endpgm
	.section	.rodata,"a",@progbits
	.p2align	6, 0x0
	.amdhsa_kernel _Z6kernelI14exclusive_scanILN6hipcub18BlockScanAlgorithmE0EEN15benchmark_utils11custom_typeIddEELj256ELj8ELj100EEvPKT0_PS7_S7_
		.amdhsa_group_segment_fixed_size 64
		.amdhsa_private_segment_fixed_size 0
		.amdhsa_kernarg_size 288
		.amdhsa_user_sgpr_count 2
		.amdhsa_user_sgpr_dispatch_ptr 0
		.amdhsa_user_sgpr_queue_ptr 0
		.amdhsa_user_sgpr_kernarg_segment_ptr 1
		.amdhsa_user_sgpr_dispatch_id 0
		.amdhsa_user_sgpr_kernarg_preload_length 0
		.amdhsa_user_sgpr_kernarg_preload_offset 0
		.amdhsa_user_sgpr_private_segment_size 0
		.amdhsa_uses_dynamic_stack 0
		.amdhsa_enable_private_segment 0
		.amdhsa_system_sgpr_workgroup_id_x 1
		.amdhsa_system_sgpr_workgroup_id_y 0
		.amdhsa_system_sgpr_workgroup_id_z 0
		.amdhsa_system_sgpr_workgroup_info 0
		.amdhsa_system_vgpr_workitem_id 0
		.amdhsa_next_free_vgpr 52
		.amdhsa_next_free_sgpr 36
		.amdhsa_accum_offset 52
		.amdhsa_reserve_vcc 1
		.amdhsa_float_round_mode_32 0
		.amdhsa_float_round_mode_16_64 0
		.amdhsa_float_denorm_mode_32 3
		.amdhsa_float_denorm_mode_16_64 3
		.amdhsa_dx10_clamp 1
		.amdhsa_ieee_mode 1
		.amdhsa_fp16_overflow 0
		.amdhsa_tg_split 0
		.amdhsa_exception_fp_ieee_invalid_op 0
		.amdhsa_exception_fp_denorm_src 0
		.amdhsa_exception_fp_ieee_div_zero 0
		.amdhsa_exception_fp_ieee_overflow 0
		.amdhsa_exception_fp_ieee_underflow 0
		.amdhsa_exception_fp_ieee_inexact 0
		.amdhsa_exception_int_div_zero 0
	.end_amdhsa_kernel
	.section	.text._Z6kernelI14exclusive_scanILN6hipcub18BlockScanAlgorithmE0EEN15benchmark_utils11custom_typeIddEELj256ELj8ELj100EEvPKT0_PS7_S7_,"axG",@progbits,_Z6kernelI14exclusive_scanILN6hipcub18BlockScanAlgorithmE0EEN15benchmark_utils11custom_typeIddEELj256ELj8ELj100EEvPKT0_PS7_S7_,comdat
.Lfunc_end215:
	.size	_Z6kernelI14exclusive_scanILN6hipcub18BlockScanAlgorithmE0EEN15benchmark_utils11custom_typeIddEELj256ELj8ELj100EEvPKT0_PS7_S7_, .Lfunc_end215-_Z6kernelI14exclusive_scanILN6hipcub18BlockScanAlgorithmE0EEN15benchmark_utils11custom_typeIddEELj256ELj8ELj100EEvPKT0_PS7_S7_
                                        ; -- End function
	.section	.AMDGPU.csdata,"",@progbits
; Kernel info:
; codeLenInByte = 1432
; NumSgprs: 42
; NumVgprs: 52
; NumAgprs: 0
; TotalNumVgprs: 52
; ScratchSize: 0
; MemoryBound: 0
; FloatMode: 240
; IeeeMode: 1
; LDSByteSize: 64 bytes/workgroup (compile time only)
; SGPRBlocks: 5
; VGPRBlocks: 6
; NumSGPRsForWavesPerEU: 42
; NumVGPRsForWavesPerEU: 52
; AccumOffset: 52
; Occupancy: 8
; WaveLimiterHint : 0
; COMPUTE_PGM_RSRC2:SCRATCH_EN: 0
; COMPUTE_PGM_RSRC2:USER_SGPR: 2
; COMPUTE_PGM_RSRC2:TRAP_HANDLER: 0
; COMPUTE_PGM_RSRC2:TGID_X_EN: 1
; COMPUTE_PGM_RSRC2:TGID_Y_EN: 0
; COMPUTE_PGM_RSRC2:TGID_Z_EN: 0
; COMPUTE_PGM_RSRC2:TIDIG_COMP_CNT: 0
; COMPUTE_PGM_RSRC3_GFX90A:ACCUM_OFFSET: 12
; COMPUTE_PGM_RSRC3_GFX90A:TG_SPLIT: 0
	.text
	.p2alignl 6, 3212836864
	.fill 256, 4, 3212836864
	.type	__hip_cuid_8c357942bcafcc3f,@object ; @__hip_cuid_8c357942bcafcc3f
	.section	.bss,"aw",@nobits
	.globl	__hip_cuid_8c357942bcafcc3f
__hip_cuid_8c357942bcafcc3f:
	.byte	0                               ; 0x0
	.size	__hip_cuid_8c357942bcafcc3f, 1

	.ident	"AMD clang version 19.0.0git (https://github.com/RadeonOpenCompute/llvm-project roc-6.4.0 25133 c7fe45cf4b819c5991fe208aaa96edf142730f1d)"
	.section	".note.GNU-stack","",@progbits
	.addrsig
	.addrsig_sym __hip_cuid_8c357942bcafcc3f
	.amdgpu_metadata
---
amdhsa.kernels:
  - .agpr_count:     0
    .args:
      - .address_space:  global
        .offset:         0
        .size:           8
        .value_kind:     global_buffer
      - .address_space:  global
        .offset:         8
        .size:           8
        .value_kind:     global_buffer
      - .offset:         16
        .size:           4
        .value_kind:     by_value
      - .offset:         24
        .size:           4
        .value_kind:     hidden_block_count_x
      - .offset:         28
        .size:           4
        .value_kind:     hidden_block_count_y
      - .offset:         32
        .size:           4
        .value_kind:     hidden_block_count_z
      - .offset:         36
        .size:           2
        .value_kind:     hidden_group_size_x
      - .offset:         38
        .size:           2
        .value_kind:     hidden_group_size_y
      - .offset:         40
        .size:           2
        .value_kind:     hidden_group_size_z
      - .offset:         42
        .size:           2
        .value_kind:     hidden_remainder_x
      - .offset:         44
        .size:           2
        .value_kind:     hidden_remainder_y
      - .offset:         46
        .size:           2
        .value_kind:     hidden_remainder_z
      - .offset:         64
        .size:           8
        .value_kind:     hidden_global_offset_x
      - .offset:         72
        .size:           8
        .value_kind:     hidden_global_offset_y
      - .offset:         80
        .size:           8
        .value_kind:     hidden_global_offset_z
      - .offset:         88
        .size:           2
        .value_kind:     hidden_grid_dims
    .group_segment_fixed_size: 4
    .kernarg_segment_align: 8
    .kernarg_segment_size: 280
    .language:       OpenCL C
    .language_version:
      - 2
      - 0
    .max_flat_workgroup_size: 64
    .name:           _Z6kernelI14inclusive_scanILN6hipcub18BlockScanAlgorithmE1EEiLj64ELj1ELj100EEvPKT0_PS4_S4_
    .private_segment_fixed_size: 0
    .sgpr_count:     23
    .sgpr_spill_count: 0
    .symbol:         _Z6kernelI14inclusive_scanILN6hipcub18BlockScanAlgorithmE1EEiLj64ELj1ELj100EEvPKT0_PS4_S4_.kd
    .uniform_work_group_size: 1
    .uses_dynamic_stack: false
    .vgpr_count:     6
    .vgpr_spill_count: 0
    .wavefront_size: 64
  - .agpr_count:     0
    .args:
      - .address_space:  global
        .offset:         0
        .size:           8
        .value_kind:     global_buffer
      - .address_space:  global
        .offset:         8
        .size:           8
        .value_kind:     global_buffer
      - .offset:         16
        .size:           4
        .value_kind:     by_value
      - .offset:         24
        .size:           4
        .value_kind:     hidden_block_count_x
      - .offset:         28
        .size:           4
        .value_kind:     hidden_block_count_y
      - .offset:         32
        .size:           4
        .value_kind:     hidden_block_count_z
      - .offset:         36
        .size:           2
        .value_kind:     hidden_group_size_x
      - .offset:         38
        .size:           2
        .value_kind:     hidden_group_size_y
      - .offset:         40
        .size:           2
        .value_kind:     hidden_group_size_z
      - .offset:         42
        .size:           2
        .value_kind:     hidden_remainder_x
      - .offset:         44
        .size:           2
        .value_kind:     hidden_remainder_y
      - .offset:         46
        .size:           2
        .value_kind:     hidden_remainder_z
      - .offset:         64
        .size:           8
        .value_kind:     hidden_global_offset_x
      - .offset:         72
        .size:           8
        .value_kind:     hidden_global_offset_y
      - .offset:         80
        .size:           8
        .value_kind:     hidden_global_offset_z
      - .offset:         88
        .size:           2
        .value_kind:     hidden_grid_dims
    .group_segment_fixed_size: 4
    .kernarg_segment_align: 8
    .kernarg_segment_size: 280
    .language:       OpenCL C
    .language_version:
      - 2
      - 0
    .max_flat_workgroup_size: 64
    .name:           _Z6kernelI14inclusive_scanILN6hipcub18BlockScanAlgorithmE1EEiLj64ELj3ELj100EEvPKT0_PS4_S4_
    .private_segment_fixed_size: 0
    .sgpr_count:     25
    .sgpr_spill_count: 0
    .symbol:         _Z6kernelI14inclusive_scanILN6hipcub18BlockScanAlgorithmE1EEiLj64ELj3ELj100EEvPKT0_PS4_S4_.kd
    .uniform_work_group_size: 1
    .uses_dynamic_stack: false
    .vgpr_count:     16
    .vgpr_spill_count: 0
    .wavefront_size: 64
  - .agpr_count:     0
    .args:
      - .address_space:  global
        .offset:         0
        .size:           8
        .value_kind:     global_buffer
      - .address_space:  global
        .offset:         8
        .size:           8
        .value_kind:     global_buffer
      - .offset:         16
        .size:           4
        .value_kind:     by_value
      - .offset:         24
        .size:           4
        .value_kind:     hidden_block_count_x
      - .offset:         28
        .size:           4
        .value_kind:     hidden_block_count_y
      - .offset:         32
        .size:           4
        .value_kind:     hidden_block_count_z
      - .offset:         36
        .size:           2
        .value_kind:     hidden_group_size_x
      - .offset:         38
        .size:           2
        .value_kind:     hidden_group_size_y
      - .offset:         40
        .size:           2
        .value_kind:     hidden_group_size_z
      - .offset:         42
        .size:           2
        .value_kind:     hidden_remainder_x
      - .offset:         44
        .size:           2
        .value_kind:     hidden_remainder_y
      - .offset:         46
        .size:           2
        .value_kind:     hidden_remainder_z
      - .offset:         64
        .size:           8
        .value_kind:     hidden_global_offset_x
      - .offset:         72
        .size:           8
        .value_kind:     hidden_global_offset_y
      - .offset:         80
        .size:           8
        .value_kind:     hidden_global_offset_z
      - .offset:         88
        .size:           2
        .value_kind:     hidden_grid_dims
    .group_segment_fixed_size: 4
    .kernarg_segment_align: 8
    .kernarg_segment_size: 280
    .language:       OpenCL C
    .language_version:
      - 2
      - 0
    .max_flat_workgroup_size: 64
    .name:           _Z6kernelI14inclusive_scanILN6hipcub18BlockScanAlgorithmE1EEiLj64ELj4ELj100EEvPKT0_PS4_S4_
    .private_segment_fixed_size: 0
    .sgpr_count:     25
    .sgpr_spill_count: 0
    .symbol:         _Z6kernelI14inclusive_scanILN6hipcub18BlockScanAlgorithmE1EEiLj64ELj4ELj100EEvPKT0_PS4_S4_.kd
    .uniform_work_group_size: 1
    .uses_dynamic_stack: false
    .vgpr_count:     10
    .vgpr_spill_count: 0
    .wavefront_size: 64
  - .agpr_count:     0
    .args:
      - .address_space:  global
        .offset:         0
        .size:           8
        .value_kind:     global_buffer
      - .address_space:  global
        .offset:         8
        .size:           8
        .value_kind:     global_buffer
      - .offset:         16
        .size:           4
        .value_kind:     by_value
      - .offset:         24
        .size:           4
        .value_kind:     hidden_block_count_x
      - .offset:         28
        .size:           4
        .value_kind:     hidden_block_count_y
      - .offset:         32
        .size:           4
        .value_kind:     hidden_block_count_z
      - .offset:         36
        .size:           2
        .value_kind:     hidden_group_size_x
      - .offset:         38
        .size:           2
        .value_kind:     hidden_group_size_y
      - .offset:         40
        .size:           2
        .value_kind:     hidden_group_size_z
      - .offset:         42
        .size:           2
        .value_kind:     hidden_remainder_x
      - .offset:         44
        .size:           2
        .value_kind:     hidden_remainder_y
      - .offset:         46
        .size:           2
        .value_kind:     hidden_remainder_z
      - .offset:         64
        .size:           8
        .value_kind:     hidden_global_offset_x
      - .offset:         72
        .size:           8
        .value_kind:     hidden_global_offset_y
      - .offset:         80
        .size:           8
        .value_kind:     hidden_global_offset_z
      - .offset:         88
        .size:           2
        .value_kind:     hidden_grid_dims
    .group_segment_fixed_size: 4
    .kernarg_segment_align: 8
    .kernarg_segment_size: 280
    .language:       OpenCL C
    .language_version:
      - 2
      - 0
    .max_flat_workgroup_size: 64
    .name:           _Z6kernelI14inclusive_scanILN6hipcub18BlockScanAlgorithmE1EEiLj64ELj8ELj100EEvPKT0_PS4_S4_
    .private_segment_fixed_size: 0
    .sgpr_count:     25
    .sgpr_spill_count: 0
    .symbol:         _Z6kernelI14inclusive_scanILN6hipcub18BlockScanAlgorithmE1EEiLj64ELj8ELj100EEvPKT0_PS4_S4_.kd
    .uniform_work_group_size: 1
    .uses_dynamic_stack: false
    .vgpr_count:     14
    .vgpr_spill_count: 0
    .wavefront_size: 64
  - .agpr_count:     0
    .args:
      - .address_space:  global
        .offset:         0
        .size:           8
        .value_kind:     global_buffer
      - .address_space:  global
        .offset:         8
        .size:           8
        .value_kind:     global_buffer
      - .offset:         16
        .size:           4
        .value_kind:     by_value
      - .offset:         24
        .size:           4
        .value_kind:     hidden_block_count_x
      - .offset:         28
        .size:           4
        .value_kind:     hidden_block_count_y
      - .offset:         32
        .size:           4
        .value_kind:     hidden_block_count_z
      - .offset:         36
        .size:           2
        .value_kind:     hidden_group_size_x
      - .offset:         38
        .size:           2
        .value_kind:     hidden_group_size_y
      - .offset:         40
        .size:           2
        .value_kind:     hidden_group_size_z
      - .offset:         42
        .size:           2
        .value_kind:     hidden_remainder_x
      - .offset:         44
        .size:           2
        .value_kind:     hidden_remainder_y
      - .offset:         46
        .size:           2
        .value_kind:     hidden_remainder_z
      - .offset:         64
        .size:           8
        .value_kind:     hidden_global_offset_x
      - .offset:         72
        .size:           8
        .value_kind:     hidden_global_offset_y
      - .offset:         80
        .size:           8
        .value_kind:     hidden_global_offset_z
      - .offset:         88
        .size:           2
        .value_kind:     hidden_grid_dims
    .group_segment_fixed_size: 4
    .kernarg_segment_align: 8
    .kernarg_segment_size: 280
    .language:       OpenCL C
    .language_version:
      - 2
      - 0
    .max_flat_workgroup_size: 64
    .name:           _Z6kernelI14inclusive_scanILN6hipcub18BlockScanAlgorithmE1EEiLj64ELj11ELj100EEvPKT0_PS4_S4_
    .private_segment_fixed_size: 0
    .sgpr_count:     25
    .sgpr_spill_count: 0
    .symbol:         _Z6kernelI14inclusive_scanILN6hipcub18BlockScanAlgorithmE1EEiLj64ELj11ELj100EEvPKT0_PS4_S4_.kd
    .uniform_work_group_size: 1
    .uses_dynamic_stack: false
    .vgpr_count:     42
    .vgpr_spill_count: 0
    .wavefront_size: 64
  - .agpr_count:     0
    .args:
      - .address_space:  global
        .offset:         0
        .size:           8
        .value_kind:     global_buffer
      - .address_space:  global
        .offset:         8
        .size:           8
        .value_kind:     global_buffer
      - .offset:         16
        .size:           4
        .value_kind:     by_value
      - .offset:         24
        .size:           4
        .value_kind:     hidden_block_count_x
      - .offset:         28
        .size:           4
        .value_kind:     hidden_block_count_y
      - .offset:         32
        .size:           4
        .value_kind:     hidden_block_count_z
      - .offset:         36
        .size:           2
        .value_kind:     hidden_group_size_x
      - .offset:         38
        .size:           2
        .value_kind:     hidden_group_size_y
      - .offset:         40
        .size:           2
        .value_kind:     hidden_group_size_z
      - .offset:         42
        .size:           2
        .value_kind:     hidden_remainder_x
      - .offset:         44
        .size:           2
        .value_kind:     hidden_remainder_y
      - .offset:         46
        .size:           2
        .value_kind:     hidden_remainder_z
      - .offset:         64
        .size:           8
        .value_kind:     hidden_global_offset_x
      - .offset:         72
        .size:           8
        .value_kind:     hidden_global_offset_y
      - .offset:         80
        .size:           8
        .value_kind:     hidden_global_offset_z
      - .offset:         88
        .size:           2
        .value_kind:     hidden_grid_dims
    .group_segment_fixed_size: 4
    .kernarg_segment_align: 8
    .kernarg_segment_size: 280
    .language:       OpenCL C
    .language_version:
      - 2
      - 0
    .max_flat_workgroup_size: 64
    .name:           _Z6kernelI14inclusive_scanILN6hipcub18BlockScanAlgorithmE1EEiLj64ELj16ELj100EEvPKT0_PS4_S4_
    .private_segment_fixed_size: 0
    .sgpr_count:     25
    .sgpr_spill_count: 0
    .symbol:         _Z6kernelI14inclusive_scanILN6hipcub18BlockScanAlgorithmE1EEiLj64ELj16ELj100EEvPKT0_PS4_S4_.kd
    .uniform_work_group_size: 1
    .uses_dynamic_stack: false
    .vgpr_count:     22
    .vgpr_spill_count: 0
    .wavefront_size: 64
  - .agpr_count:     0
    .args:
      - .address_space:  global
        .offset:         0
        .size:           8
        .value_kind:     global_buffer
      - .address_space:  global
        .offset:         8
        .size:           8
        .value_kind:     global_buffer
      - .offset:         16
        .size:           4
        .value_kind:     by_value
      - .offset:         24
        .size:           4
        .value_kind:     hidden_block_count_x
      - .offset:         28
        .size:           4
        .value_kind:     hidden_block_count_y
      - .offset:         32
        .size:           4
        .value_kind:     hidden_block_count_z
      - .offset:         36
        .size:           2
        .value_kind:     hidden_group_size_x
      - .offset:         38
        .size:           2
        .value_kind:     hidden_group_size_y
      - .offset:         40
        .size:           2
        .value_kind:     hidden_group_size_z
      - .offset:         42
        .size:           2
        .value_kind:     hidden_remainder_x
      - .offset:         44
        .size:           2
        .value_kind:     hidden_remainder_y
      - .offset:         46
        .size:           2
        .value_kind:     hidden_remainder_z
      - .offset:         64
        .size:           8
        .value_kind:     hidden_global_offset_x
      - .offset:         72
        .size:           8
        .value_kind:     hidden_global_offset_y
      - .offset:         80
        .size:           8
        .value_kind:     hidden_global_offset_z
      - .offset:         88
        .size:           2
        .value_kind:     hidden_grid_dims
    .group_segment_fixed_size: 4
    .kernarg_segment_align: 8
    .kernarg_segment_size: 280
    .language:       OpenCL C
    .language_version:
      - 2
      - 0
    .max_flat_workgroup_size: 64
    .name:           _Z6kernelI14inclusive_scanILN6hipcub18BlockScanAlgorithmE1EEfLj64ELj1ELj100EEvPKT0_PS4_S4_
    .private_segment_fixed_size: 0
    .sgpr_count:     23
    .sgpr_spill_count: 0
    .symbol:         _Z6kernelI14inclusive_scanILN6hipcub18BlockScanAlgorithmE1EEfLj64ELj1ELj100EEvPKT0_PS4_S4_.kd
    .uniform_work_group_size: 1
    .uses_dynamic_stack: false
    .vgpr_count:     6
    .vgpr_spill_count: 0
    .wavefront_size: 64
  - .agpr_count:     0
    .args:
      - .address_space:  global
        .offset:         0
        .size:           8
        .value_kind:     global_buffer
      - .address_space:  global
        .offset:         8
        .size:           8
        .value_kind:     global_buffer
      - .offset:         16
        .size:           4
        .value_kind:     by_value
      - .offset:         24
        .size:           4
        .value_kind:     hidden_block_count_x
      - .offset:         28
        .size:           4
        .value_kind:     hidden_block_count_y
      - .offset:         32
        .size:           4
        .value_kind:     hidden_block_count_z
      - .offset:         36
        .size:           2
        .value_kind:     hidden_group_size_x
      - .offset:         38
        .size:           2
        .value_kind:     hidden_group_size_y
      - .offset:         40
        .size:           2
        .value_kind:     hidden_group_size_z
      - .offset:         42
        .size:           2
        .value_kind:     hidden_remainder_x
      - .offset:         44
        .size:           2
        .value_kind:     hidden_remainder_y
      - .offset:         46
        .size:           2
        .value_kind:     hidden_remainder_z
      - .offset:         64
        .size:           8
        .value_kind:     hidden_global_offset_x
      - .offset:         72
        .size:           8
        .value_kind:     hidden_global_offset_y
      - .offset:         80
        .size:           8
        .value_kind:     hidden_global_offset_z
      - .offset:         88
        .size:           2
        .value_kind:     hidden_grid_dims
    .group_segment_fixed_size: 4
    .kernarg_segment_align: 8
    .kernarg_segment_size: 280
    .language:       OpenCL C
    .language_version:
      - 2
      - 0
    .max_flat_workgroup_size: 64
    .name:           _Z6kernelI14inclusive_scanILN6hipcub18BlockScanAlgorithmE1EEfLj64ELj3ELj100EEvPKT0_PS4_S4_
    .private_segment_fixed_size: 0
    .sgpr_count:     25
    .sgpr_spill_count: 0
    .symbol:         _Z6kernelI14inclusive_scanILN6hipcub18BlockScanAlgorithmE1EEfLj64ELj3ELj100EEvPKT0_PS4_S4_.kd
    .uniform_work_group_size: 1
    .uses_dynamic_stack: false
    .vgpr_count:     16
    .vgpr_spill_count: 0
    .wavefront_size: 64
  - .agpr_count:     0
    .args:
      - .address_space:  global
        .offset:         0
        .size:           8
        .value_kind:     global_buffer
      - .address_space:  global
        .offset:         8
        .size:           8
        .value_kind:     global_buffer
      - .offset:         16
        .size:           4
        .value_kind:     by_value
      - .offset:         24
        .size:           4
        .value_kind:     hidden_block_count_x
      - .offset:         28
        .size:           4
        .value_kind:     hidden_block_count_y
      - .offset:         32
        .size:           4
        .value_kind:     hidden_block_count_z
      - .offset:         36
        .size:           2
        .value_kind:     hidden_group_size_x
      - .offset:         38
        .size:           2
        .value_kind:     hidden_group_size_y
      - .offset:         40
        .size:           2
        .value_kind:     hidden_group_size_z
      - .offset:         42
        .size:           2
        .value_kind:     hidden_remainder_x
      - .offset:         44
        .size:           2
        .value_kind:     hidden_remainder_y
      - .offset:         46
        .size:           2
        .value_kind:     hidden_remainder_z
      - .offset:         64
        .size:           8
        .value_kind:     hidden_global_offset_x
      - .offset:         72
        .size:           8
        .value_kind:     hidden_global_offset_y
      - .offset:         80
        .size:           8
        .value_kind:     hidden_global_offset_z
      - .offset:         88
        .size:           2
        .value_kind:     hidden_grid_dims
    .group_segment_fixed_size: 4
    .kernarg_segment_align: 8
    .kernarg_segment_size: 280
    .language:       OpenCL C
    .language_version:
      - 2
      - 0
    .max_flat_workgroup_size: 64
    .name:           _Z6kernelI14inclusive_scanILN6hipcub18BlockScanAlgorithmE1EEfLj64ELj4ELj100EEvPKT0_PS4_S4_
    .private_segment_fixed_size: 0
    .sgpr_count:     25
    .sgpr_spill_count: 0
    .symbol:         _Z6kernelI14inclusive_scanILN6hipcub18BlockScanAlgorithmE1EEfLj64ELj4ELj100EEvPKT0_PS4_S4_.kd
    .uniform_work_group_size: 1
    .uses_dynamic_stack: false
    .vgpr_count:     10
    .vgpr_spill_count: 0
    .wavefront_size: 64
  - .agpr_count:     0
    .args:
      - .address_space:  global
        .offset:         0
        .size:           8
        .value_kind:     global_buffer
      - .address_space:  global
        .offset:         8
        .size:           8
        .value_kind:     global_buffer
      - .offset:         16
        .size:           4
        .value_kind:     by_value
      - .offset:         24
        .size:           4
        .value_kind:     hidden_block_count_x
      - .offset:         28
        .size:           4
        .value_kind:     hidden_block_count_y
      - .offset:         32
        .size:           4
        .value_kind:     hidden_block_count_z
      - .offset:         36
        .size:           2
        .value_kind:     hidden_group_size_x
      - .offset:         38
        .size:           2
        .value_kind:     hidden_group_size_y
      - .offset:         40
        .size:           2
        .value_kind:     hidden_group_size_z
      - .offset:         42
        .size:           2
        .value_kind:     hidden_remainder_x
      - .offset:         44
        .size:           2
        .value_kind:     hidden_remainder_y
      - .offset:         46
        .size:           2
        .value_kind:     hidden_remainder_z
      - .offset:         64
        .size:           8
        .value_kind:     hidden_global_offset_x
      - .offset:         72
        .size:           8
        .value_kind:     hidden_global_offset_y
      - .offset:         80
        .size:           8
        .value_kind:     hidden_global_offset_z
      - .offset:         88
        .size:           2
        .value_kind:     hidden_grid_dims
    .group_segment_fixed_size: 4
    .kernarg_segment_align: 8
    .kernarg_segment_size: 280
    .language:       OpenCL C
    .language_version:
      - 2
      - 0
    .max_flat_workgroup_size: 64
    .name:           _Z6kernelI14inclusive_scanILN6hipcub18BlockScanAlgorithmE1EEfLj64ELj8ELj100EEvPKT0_PS4_S4_
    .private_segment_fixed_size: 0
    .sgpr_count:     25
    .sgpr_spill_count: 0
    .symbol:         _Z6kernelI14inclusive_scanILN6hipcub18BlockScanAlgorithmE1EEfLj64ELj8ELj100EEvPKT0_PS4_S4_.kd
    .uniform_work_group_size: 1
    .uses_dynamic_stack: false
    .vgpr_count:     14
    .vgpr_spill_count: 0
    .wavefront_size: 64
  - .agpr_count:     0
    .args:
      - .address_space:  global
        .offset:         0
        .size:           8
        .value_kind:     global_buffer
      - .address_space:  global
        .offset:         8
        .size:           8
        .value_kind:     global_buffer
      - .offset:         16
        .size:           4
        .value_kind:     by_value
      - .offset:         24
        .size:           4
        .value_kind:     hidden_block_count_x
      - .offset:         28
        .size:           4
        .value_kind:     hidden_block_count_y
      - .offset:         32
        .size:           4
        .value_kind:     hidden_block_count_z
      - .offset:         36
        .size:           2
        .value_kind:     hidden_group_size_x
      - .offset:         38
        .size:           2
        .value_kind:     hidden_group_size_y
      - .offset:         40
        .size:           2
        .value_kind:     hidden_group_size_z
      - .offset:         42
        .size:           2
        .value_kind:     hidden_remainder_x
      - .offset:         44
        .size:           2
        .value_kind:     hidden_remainder_y
      - .offset:         46
        .size:           2
        .value_kind:     hidden_remainder_z
      - .offset:         64
        .size:           8
        .value_kind:     hidden_global_offset_x
      - .offset:         72
        .size:           8
        .value_kind:     hidden_global_offset_y
      - .offset:         80
        .size:           8
        .value_kind:     hidden_global_offset_z
      - .offset:         88
        .size:           2
        .value_kind:     hidden_grid_dims
    .group_segment_fixed_size: 4
    .kernarg_segment_align: 8
    .kernarg_segment_size: 280
    .language:       OpenCL C
    .language_version:
      - 2
      - 0
    .max_flat_workgroup_size: 64
    .name:           _Z6kernelI14inclusive_scanILN6hipcub18BlockScanAlgorithmE1EEfLj64ELj11ELj100EEvPKT0_PS4_S4_
    .private_segment_fixed_size: 0
    .sgpr_count:     25
    .sgpr_spill_count: 0
    .symbol:         _Z6kernelI14inclusive_scanILN6hipcub18BlockScanAlgorithmE1EEfLj64ELj11ELj100EEvPKT0_PS4_S4_.kd
    .uniform_work_group_size: 1
    .uses_dynamic_stack: false
    .vgpr_count:     42
    .vgpr_spill_count: 0
    .wavefront_size: 64
  - .agpr_count:     0
    .args:
      - .address_space:  global
        .offset:         0
        .size:           8
        .value_kind:     global_buffer
      - .address_space:  global
        .offset:         8
        .size:           8
        .value_kind:     global_buffer
      - .offset:         16
        .size:           4
        .value_kind:     by_value
      - .offset:         24
        .size:           4
        .value_kind:     hidden_block_count_x
      - .offset:         28
        .size:           4
        .value_kind:     hidden_block_count_y
      - .offset:         32
        .size:           4
        .value_kind:     hidden_block_count_z
      - .offset:         36
        .size:           2
        .value_kind:     hidden_group_size_x
      - .offset:         38
        .size:           2
        .value_kind:     hidden_group_size_y
      - .offset:         40
        .size:           2
        .value_kind:     hidden_group_size_z
      - .offset:         42
        .size:           2
        .value_kind:     hidden_remainder_x
      - .offset:         44
        .size:           2
        .value_kind:     hidden_remainder_y
      - .offset:         46
        .size:           2
        .value_kind:     hidden_remainder_z
      - .offset:         64
        .size:           8
        .value_kind:     hidden_global_offset_x
      - .offset:         72
        .size:           8
        .value_kind:     hidden_global_offset_y
      - .offset:         80
        .size:           8
        .value_kind:     hidden_global_offset_z
      - .offset:         88
        .size:           2
        .value_kind:     hidden_grid_dims
    .group_segment_fixed_size: 4
    .kernarg_segment_align: 8
    .kernarg_segment_size: 280
    .language:       OpenCL C
    .language_version:
      - 2
      - 0
    .max_flat_workgroup_size: 64
    .name:           _Z6kernelI14inclusive_scanILN6hipcub18BlockScanAlgorithmE1EEfLj64ELj16ELj100EEvPKT0_PS4_S4_
    .private_segment_fixed_size: 0
    .sgpr_count:     25
    .sgpr_spill_count: 0
    .symbol:         _Z6kernelI14inclusive_scanILN6hipcub18BlockScanAlgorithmE1EEfLj64ELj16ELj100EEvPKT0_PS4_S4_.kd
    .uniform_work_group_size: 1
    .uses_dynamic_stack: false
    .vgpr_count:     22
    .vgpr_spill_count: 0
    .wavefront_size: 64
  - .agpr_count:     0
    .args:
      - .address_space:  global
        .offset:         0
        .size:           8
        .value_kind:     global_buffer
      - .address_space:  global
        .offset:         8
        .size:           8
        .value_kind:     global_buffer
      - .offset:         16
        .size:           8
        .value_kind:     by_value
      - .offset:         24
        .size:           4
        .value_kind:     hidden_block_count_x
      - .offset:         28
        .size:           4
        .value_kind:     hidden_block_count_y
      - .offset:         32
        .size:           4
        .value_kind:     hidden_block_count_z
      - .offset:         36
        .size:           2
        .value_kind:     hidden_group_size_x
      - .offset:         38
        .size:           2
        .value_kind:     hidden_group_size_y
      - .offset:         40
        .size:           2
        .value_kind:     hidden_group_size_z
      - .offset:         42
        .size:           2
        .value_kind:     hidden_remainder_x
      - .offset:         44
        .size:           2
        .value_kind:     hidden_remainder_y
      - .offset:         46
        .size:           2
        .value_kind:     hidden_remainder_z
      - .offset:         64
        .size:           8
        .value_kind:     hidden_global_offset_x
      - .offset:         72
        .size:           8
        .value_kind:     hidden_global_offset_y
      - .offset:         80
        .size:           8
        .value_kind:     hidden_global_offset_z
      - .offset:         88
        .size:           2
        .value_kind:     hidden_grid_dims
    .group_segment_fixed_size: 8
    .kernarg_segment_align: 8
    .kernarg_segment_size: 280
    .language:       OpenCL C
    .language_version:
      - 2
      - 0
    .max_flat_workgroup_size: 64
    .name:           _Z6kernelI14inclusive_scanILN6hipcub18BlockScanAlgorithmE1EEdLj64ELj1ELj100EEvPKT0_PS4_S4_
    .private_segment_fixed_size: 0
    .sgpr_count:     25
    .sgpr_spill_count: 0
    .symbol:         _Z6kernelI14inclusive_scanILN6hipcub18BlockScanAlgorithmE1EEdLj64ELj1ELj100EEvPKT0_PS4_S4_.kd
    .uniform_work_group_size: 1
    .uses_dynamic_stack: false
    .vgpr_count:     8
    .vgpr_spill_count: 0
    .wavefront_size: 64
  - .agpr_count:     0
    .args:
      - .address_space:  global
        .offset:         0
        .size:           8
        .value_kind:     global_buffer
      - .address_space:  global
        .offset:         8
        .size:           8
        .value_kind:     global_buffer
      - .offset:         16
        .size:           8
        .value_kind:     by_value
      - .offset:         24
        .size:           4
        .value_kind:     hidden_block_count_x
      - .offset:         28
        .size:           4
        .value_kind:     hidden_block_count_y
      - .offset:         32
        .size:           4
        .value_kind:     hidden_block_count_z
      - .offset:         36
        .size:           2
        .value_kind:     hidden_group_size_x
      - .offset:         38
        .size:           2
        .value_kind:     hidden_group_size_y
      - .offset:         40
        .size:           2
        .value_kind:     hidden_group_size_z
      - .offset:         42
        .size:           2
        .value_kind:     hidden_remainder_x
      - .offset:         44
        .size:           2
        .value_kind:     hidden_remainder_y
      - .offset:         46
        .size:           2
        .value_kind:     hidden_remainder_z
      - .offset:         64
        .size:           8
        .value_kind:     hidden_global_offset_x
      - .offset:         72
        .size:           8
        .value_kind:     hidden_global_offset_y
      - .offset:         80
        .size:           8
        .value_kind:     hidden_global_offset_z
      - .offset:         88
        .size:           2
        .value_kind:     hidden_grid_dims
    .group_segment_fixed_size: 8
    .kernarg_segment_align: 8
    .kernarg_segment_size: 280
    .language:       OpenCL C
    .language_version:
      - 2
      - 0
    .max_flat_workgroup_size: 64
    .name:           _Z6kernelI14inclusive_scanILN6hipcub18BlockScanAlgorithmE1EEdLj64ELj3ELj100EEvPKT0_PS4_S4_
    .private_segment_fixed_size: 0
    .sgpr_count:     27
    .sgpr_spill_count: 0
    .symbol:         _Z6kernelI14inclusive_scanILN6hipcub18BlockScanAlgorithmE1EEdLj64ELj3ELj100EEvPKT0_PS4_S4_.kd
    .uniform_work_group_size: 1
    .uses_dynamic_stack: false
    .vgpr_count:     20
    .vgpr_spill_count: 0
    .wavefront_size: 64
  - .agpr_count:     0
    .args:
      - .address_space:  global
        .offset:         0
        .size:           8
        .value_kind:     global_buffer
      - .address_space:  global
        .offset:         8
        .size:           8
        .value_kind:     global_buffer
      - .offset:         16
        .size:           8
        .value_kind:     by_value
      - .offset:         24
        .size:           4
        .value_kind:     hidden_block_count_x
      - .offset:         28
        .size:           4
        .value_kind:     hidden_block_count_y
      - .offset:         32
        .size:           4
        .value_kind:     hidden_block_count_z
      - .offset:         36
        .size:           2
        .value_kind:     hidden_group_size_x
      - .offset:         38
        .size:           2
        .value_kind:     hidden_group_size_y
      - .offset:         40
        .size:           2
        .value_kind:     hidden_group_size_z
      - .offset:         42
        .size:           2
        .value_kind:     hidden_remainder_x
      - .offset:         44
        .size:           2
        .value_kind:     hidden_remainder_y
      - .offset:         46
        .size:           2
        .value_kind:     hidden_remainder_z
      - .offset:         64
        .size:           8
        .value_kind:     hidden_global_offset_x
      - .offset:         72
        .size:           8
        .value_kind:     hidden_global_offset_y
      - .offset:         80
        .size:           8
        .value_kind:     hidden_global_offset_z
      - .offset:         88
        .size:           2
        .value_kind:     hidden_grid_dims
    .group_segment_fixed_size: 8
    .kernarg_segment_align: 8
    .kernarg_segment_size: 280
    .language:       OpenCL C
    .language_version:
      - 2
      - 0
    .max_flat_workgroup_size: 64
    .name:           _Z6kernelI14inclusive_scanILN6hipcub18BlockScanAlgorithmE1EEdLj64ELj4ELj100EEvPKT0_PS4_S4_
    .private_segment_fixed_size: 0
    .sgpr_count:     27
    .sgpr_spill_count: 0
    .symbol:         _Z6kernelI14inclusive_scanILN6hipcub18BlockScanAlgorithmE1EEdLj64ELj4ELj100EEvPKT0_PS4_S4_.kd
    .uniform_work_group_size: 1
    .uses_dynamic_stack: false
    .vgpr_count:     18
    .vgpr_spill_count: 0
    .wavefront_size: 64
  - .agpr_count:     0
    .args:
      - .address_space:  global
        .offset:         0
        .size:           8
        .value_kind:     global_buffer
      - .address_space:  global
        .offset:         8
        .size:           8
        .value_kind:     global_buffer
      - .offset:         16
        .size:           8
        .value_kind:     by_value
      - .offset:         24
        .size:           4
        .value_kind:     hidden_block_count_x
      - .offset:         28
        .size:           4
        .value_kind:     hidden_block_count_y
      - .offset:         32
        .size:           4
        .value_kind:     hidden_block_count_z
      - .offset:         36
        .size:           2
        .value_kind:     hidden_group_size_x
      - .offset:         38
        .size:           2
        .value_kind:     hidden_group_size_y
      - .offset:         40
        .size:           2
        .value_kind:     hidden_group_size_z
      - .offset:         42
        .size:           2
        .value_kind:     hidden_remainder_x
      - .offset:         44
        .size:           2
        .value_kind:     hidden_remainder_y
      - .offset:         46
        .size:           2
        .value_kind:     hidden_remainder_z
      - .offset:         64
        .size:           8
        .value_kind:     hidden_global_offset_x
      - .offset:         72
        .size:           8
        .value_kind:     hidden_global_offset_y
      - .offset:         80
        .size:           8
        .value_kind:     hidden_global_offset_z
      - .offset:         88
        .size:           2
        .value_kind:     hidden_grid_dims
    .group_segment_fixed_size: 8
    .kernarg_segment_align: 8
    .kernarg_segment_size: 280
    .language:       OpenCL C
    .language_version:
      - 2
      - 0
    .max_flat_workgroup_size: 64
    .name:           _Z6kernelI14inclusive_scanILN6hipcub18BlockScanAlgorithmE1EEdLj64ELj8ELj100EEvPKT0_PS4_S4_
    .private_segment_fixed_size: 0
    .sgpr_count:     27
    .sgpr_spill_count: 0
    .symbol:         _Z6kernelI14inclusive_scanILN6hipcub18BlockScanAlgorithmE1EEdLj64ELj8ELj100EEvPKT0_PS4_S4_.kd
    .uniform_work_group_size: 1
    .uses_dynamic_stack: false
    .vgpr_count:     26
    .vgpr_spill_count: 0
    .wavefront_size: 64
  - .agpr_count:     0
    .args:
      - .address_space:  global
        .offset:         0
        .size:           8
        .value_kind:     global_buffer
      - .address_space:  global
        .offset:         8
        .size:           8
        .value_kind:     global_buffer
      - .offset:         16
        .size:           8
        .value_kind:     by_value
      - .offset:         24
        .size:           4
        .value_kind:     hidden_block_count_x
      - .offset:         28
        .size:           4
        .value_kind:     hidden_block_count_y
      - .offset:         32
        .size:           4
        .value_kind:     hidden_block_count_z
      - .offset:         36
        .size:           2
        .value_kind:     hidden_group_size_x
      - .offset:         38
        .size:           2
        .value_kind:     hidden_group_size_y
      - .offset:         40
        .size:           2
        .value_kind:     hidden_group_size_z
      - .offset:         42
        .size:           2
        .value_kind:     hidden_remainder_x
      - .offset:         44
        .size:           2
        .value_kind:     hidden_remainder_y
      - .offset:         46
        .size:           2
        .value_kind:     hidden_remainder_z
      - .offset:         64
        .size:           8
        .value_kind:     hidden_global_offset_x
      - .offset:         72
        .size:           8
        .value_kind:     hidden_global_offset_y
      - .offset:         80
        .size:           8
        .value_kind:     hidden_global_offset_z
      - .offset:         88
        .size:           2
        .value_kind:     hidden_grid_dims
    .group_segment_fixed_size: 8
    .kernarg_segment_align: 8
    .kernarg_segment_size: 280
    .language:       OpenCL C
    .language_version:
      - 2
      - 0
    .max_flat_workgroup_size: 64
    .name:           _Z6kernelI14inclusive_scanILN6hipcub18BlockScanAlgorithmE1EEdLj64ELj11ELj100EEvPKT0_PS4_S4_
    .private_segment_fixed_size: 0
    .sgpr_count:     27
    .sgpr_spill_count: 0
    .symbol:         _Z6kernelI14inclusive_scanILN6hipcub18BlockScanAlgorithmE1EEdLj64ELj11ELj100EEvPKT0_PS4_S4_.kd
    .uniform_work_group_size: 1
    .uses_dynamic_stack: false
    .vgpr_count:     52
    .vgpr_spill_count: 0
    .wavefront_size: 64
  - .agpr_count:     0
    .args:
      - .address_space:  global
        .offset:         0
        .size:           8
        .value_kind:     global_buffer
      - .address_space:  global
        .offset:         8
        .size:           8
        .value_kind:     global_buffer
      - .offset:         16
        .size:           8
        .value_kind:     by_value
      - .offset:         24
        .size:           4
        .value_kind:     hidden_block_count_x
      - .offset:         28
        .size:           4
        .value_kind:     hidden_block_count_y
      - .offset:         32
        .size:           4
        .value_kind:     hidden_block_count_z
      - .offset:         36
        .size:           2
        .value_kind:     hidden_group_size_x
      - .offset:         38
        .size:           2
        .value_kind:     hidden_group_size_y
      - .offset:         40
        .size:           2
        .value_kind:     hidden_group_size_z
      - .offset:         42
        .size:           2
        .value_kind:     hidden_remainder_x
      - .offset:         44
        .size:           2
        .value_kind:     hidden_remainder_y
      - .offset:         46
        .size:           2
        .value_kind:     hidden_remainder_z
      - .offset:         64
        .size:           8
        .value_kind:     hidden_global_offset_x
      - .offset:         72
        .size:           8
        .value_kind:     hidden_global_offset_y
      - .offset:         80
        .size:           8
        .value_kind:     hidden_global_offset_z
      - .offset:         88
        .size:           2
        .value_kind:     hidden_grid_dims
    .group_segment_fixed_size: 8
    .kernarg_segment_align: 8
    .kernarg_segment_size: 280
    .language:       OpenCL C
    .language_version:
      - 2
      - 0
    .max_flat_workgroup_size: 64
    .name:           _Z6kernelI14inclusive_scanILN6hipcub18BlockScanAlgorithmE1EEdLj64ELj16ELj100EEvPKT0_PS4_S4_
    .private_segment_fixed_size: 0
    .sgpr_count:     27
    .sgpr_spill_count: 0
    .symbol:         _Z6kernelI14inclusive_scanILN6hipcub18BlockScanAlgorithmE1EEdLj64ELj16ELj100EEvPKT0_PS4_S4_.kd
    .uniform_work_group_size: 1
    .uses_dynamic_stack: false
    .vgpr_count:     42
    .vgpr_spill_count: 0
    .wavefront_size: 64
  - .agpr_count:     0
    .args:
      - .address_space:  global
        .offset:         0
        .size:           8
        .value_kind:     global_buffer
      - .address_space:  global
        .offset:         8
        .size:           8
        .value_kind:     global_buffer
      - .offset:         16
        .size:           1
        .value_kind:     by_value
      - .offset:         24
        .size:           4
        .value_kind:     hidden_block_count_x
      - .offset:         28
        .size:           4
        .value_kind:     hidden_block_count_y
      - .offset:         32
        .size:           4
        .value_kind:     hidden_block_count_z
      - .offset:         36
        .size:           2
        .value_kind:     hidden_group_size_x
      - .offset:         38
        .size:           2
        .value_kind:     hidden_group_size_y
      - .offset:         40
        .size:           2
        .value_kind:     hidden_group_size_z
      - .offset:         42
        .size:           2
        .value_kind:     hidden_remainder_x
      - .offset:         44
        .size:           2
        .value_kind:     hidden_remainder_y
      - .offset:         46
        .size:           2
        .value_kind:     hidden_remainder_z
      - .offset:         64
        .size:           8
        .value_kind:     hidden_global_offset_x
      - .offset:         72
        .size:           8
        .value_kind:     hidden_global_offset_y
      - .offset:         80
        .size:           8
        .value_kind:     hidden_global_offset_z
      - .offset:         88
        .size:           2
        .value_kind:     hidden_grid_dims
    .group_segment_fixed_size: 1
    .kernarg_segment_align: 8
    .kernarg_segment_size: 280
    .language:       OpenCL C
    .language_version:
      - 2
      - 0
    .max_flat_workgroup_size: 64
    .name:           _Z6kernelI14inclusive_scanILN6hipcub18BlockScanAlgorithmE1EEhLj64ELj1ELj100EEvPKT0_PS4_S4_
    .private_segment_fixed_size: 0
    .sgpr_count:     23
    .sgpr_spill_count: 0
    .symbol:         _Z6kernelI14inclusive_scanILN6hipcub18BlockScanAlgorithmE1EEhLj64ELj1ELj100EEvPKT0_PS4_S4_.kd
    .uniform_work_group_size: 1
    .uses_dynamic_stack: false
    .vgpr_count:     6
    .vgpr_spill_count: 0
    .wavefront_size: 64
  - .agpr_count:     0
    .args:
      - .address_space:  global
        .offset:         0
        .size:           8
        .value_kind:     global_buffer
      - .address_space:  global
        .offset:         8
        .size:           8
        .value_kind:     global_buffer
      - .offset:         16
        .size:           1
        .value_kind:     by_value
      - .offset:         24
        .size:           4
        .value_kind:     hidden_block_count_x
      - .offset:         28
        .size:           4
        .value_kind:     hidden_block_count_y
      - .offset:         32
        .size:           4
        .value_kind:     hidden_block_count_z
      - .offset:         36
        .size:           2
        .value_kind:     hidden_group_size_x
      - .offset:         38
        .size:           2
        .value_kind:     hidden_group_size_y
      - .offset:         40
        .size:           2
        .value_kind:     hidden_group_size_z
      - .offset:         42
        .size:           2
        .value_kind:     hidden_remainder_x
      - .offset:         44
        .size:           2
        .value_kind:     hidden_remainder_y
      - .offset:         46
        .size:           2
        .value_kind:     hidden_remainder_z
      - .offset:         64
        .size:           8
        .value_kind:     hidden_global_offset_x
      - .offset:         72
        .size:           8
        .value_kind:     hidden_global_offset_y
      - .offset:         80
        .size:           8
        .value_kind:     hidden_global_offset_z
      - .offset:         88
        .size:           2
        .value_kind:     hidden_grid_dims
    .group_segment_fixed_size: 1
    .kernarg_segment_align: 8
    .kernarg_segment_size: 280
    .language:       OpenCL C
    .language_version:
      - 2
      - 0
    .max_flat_workgroup_size: 64
    .name:           _Z6kernelI14inclusive_scanILN6hipcub18BlockScanAlgorithmE1EEhLj64ELj3ELj100EEvPKT0_PS4_S4_
    .private_segment_fixed_size: 0
    .sgpr_count:     26
    .sgpr_spill_count: 0
    .symbol:         _Z6kernelI14inclusive_scanILN6hipcub18BlockScanAlgorithmE1EEhLj64ELj3ELj100EEvPKT0_PS4_S4_.kd
    .uniform_work_group_size: 1
    .uses_dynamic_stack: false
    .vgpr_count:     14
    .vgpr_spill_count: 0
    .wavefront_size: 64
  - .agpr_count:     0
    .args:
      - .address_space:  global
        .offset:         0
        .size:           8
        .value_kind:     global_buffer
      - .address_space:  global
        .offset:         8
        .size:           8
        .value_kind:     global_buffer
      - .offset:         16
        .size:           1
        .value_kind:     by_value
      - .offset:         24
        .size:           4
        .value_kind:     hidden_block_count_x
      - .offset:         28
        .size:           4
        .value_kind:     hidden_block_count_y
      - .offset:         32
        .size:           4
        .value_kind:     hidden_block_count_z
      - .offset:         36
        .size:           2
        .value_kind:     hidden_group_size_x
      - .offset:         38
        .size:           2
        .value_kind:     hidden_group_size_y
      - .offset:         40
        .size:           2
        .value_kind:     hidden_group_size_z
      - .offset:         42
        .size:           2
        .value_kind:     hidden_remainder_x
      - .offset:         44
        .size:           2
        .value_kind:     hidden_remainder_y
      - .offset:         46
        .size:           2
        .value_kind:     hidden_remainder_z
      - .offset:         64
        .size:           8
        .value_kind:     hidden_global_offset_x
      - .offset:         72
        .size:           8
        .value_kind:     hidden_global_offset_y
      - .offset:         80
        .size:           8
        .value_kind:     hidden_global_offset_z
      - .offset:         88
        .size:           2
        .value_kind:     hidden_grid_dims
    .group_segment_fixed_size: 1
    .kernarg_segment_align: 8
    .kernarg_segment_size: 280
    .language:       OpenCL C
    .language_version:
      - 2
      - 0
    .max_flat_workgroup_size: 64
    .name:           _Z6kernelI14inclusive_scanILN6hipcub18BlockScanAlgorithmE1EEhLj64ELj4ELj100EEvPKT0_PS4_S4_
    .private_segment_fixed_size: 0
    .sgpr_count:     25
    .sgpr_spill_count: 0
    .symbol:         _Z6kernelI14inclusive_scanILN6hipcub18BlockScanAlgorithmE1EEhLj64ELj4ELj100EEvPKT0_PS4_S4_.kd
    .uniform_work_group_size: 1
    .uses_dynamic_stack: false
    .vgpr_count:     7
    .vgpr_spill_count: 0
    .wavefront_size: 64
  - .agpr_count:     0
    .args:
      - .address_space:  global
        .offset:         0
        .size:           8
        .value_kind:     global_buffer
      - .address_space:  global
        .offset:         8
        .size:           8
        .value_kind:     global_buffer
      - .offset:         16
        .size:           1
        .value_kind:     by_value
      - .offset:         24
        .size:           4
        .value_kind:     hidden_block_count_x
      - .offset:         28
        .size:           4
        .value_kind:     hidden_block_count_y
      - .offset:         32
        .size:           4
        .value_kind:     hidden_block_count_z
      - .offset:         36
        .size:           2
        .value_kind:     hidden_group_size_x
      - .offset:         38
        .size:           2
        .value_kind:     hidden_group_size_y
      - .offset:         40
        .size:           2
        .value_kind:     hidden_group_size_z
      - .offset:         42
        .size:           2
        .value_kind:     hidden_remainder_x
      - .offset:         44
        .size:           2
        .value_kind:     hidden_remainder_y
      - .offset:         46
        .size:           2
        .value_kind:     hidden_remainder_z
      - .offset:         64
        .size:           8
        .value_kind:     hidden_global_offset_x
      - .offset:         72
        .size:           8
        .value_kind:     hidden_global_offset_y
      - .offset:         80
        .size:           8
        .value_kind:     hidden_global_offset_z
      - .offset:         88
        .size:           2
        .value_kind:     hidden_grid_dims
    .group_segment_fixed_size: 1
    .kernarg_segment_align: 8
    .kernarg_segment_size: 280
    .language:       OpenCL C
    .language_version:
      - 2
      - 0
    .max_flat_workgroup_size: 64
    .name:           _Z6kernelI14inclusive_scanILN6hipcub18BlockScanAlgorithmE1EEhLj64ELj8ELj100EEvPKT0_PS4_S4_
    .private_segment_fixed_size: 0
    .sgpr_count:     25
    .sgpr_spill_count: 0
    .symbol:         _Z6kernelI14inclusive_scanILN6hipcub18BlockScanAlgorithmE1EEhLj64ELj8ELj100EEvPKT0_PS4_S4_.kd
    .uniform_work_group_size: 1
    .uses_dynamic_stack: false
    .vgpr_count:     10
    .vgpr_spill_count: 0
    .wavefront_size: 64
  - .agpr_count:     0
    .args:
      - .address_space:  global
        .offset:         0
        .size:           8
        .value_kind:     global_buffer
      - .address_space:  global
        .offset:         8
        .size:           8
        .value_kind:     global_buffer
      - .offset:         16
        .size:           1
        .value_kind:     by_value
      - .offset:         24
        .size:           4
        .value_kind:     hidden_block_count_x
      - .offset:         28
        .size:           4
        .value_kind:     hidden_block_count_y
      - .offset:         32
        .size:           4
        .value_kind:     hidden_block_count_z
      - .offset:         36
        .size:           2
        .value_kind:     hidden_group_size_x
      - .offset:         38
        .size:           2
        .value_kind:     hidden_group_size_y
      - .offset:         40
        .size:           2
        .value_kind:     hidden_group_size_z
      - .offset:         42
        .size:           2
        .value_kind:     hidden_remainder_x
      - .offset:         44
        .size:           2
        .value_kind:     hidden_remainder_y
      - .offset:         46
        .size:           2
        .value_kind:     hidden_remainder_z
      - .offset:         64
        .size:           8
        .value_kind:     hidden_global_offset_x
      - .offset:         72
        .size:           8
        .value_kind:     hidden_global_offset_y
      - .offset:         80
        .size:           8
        .value_kind:     hidden_global_offset_z
      - .offset:         88
        .size:           2
        .value_kind:     hidden_grid_dims
    .group_segment_fixed_size: 1
    .kernarg_segment_align: 8
    .kernarg_segment_size: 280
    .language:       OpenCL C
    .language_version:
      - 2
      - 0
    .max_flat_workgroup_size: 64
    .name:           _Z6kernelI14inclusive_scanILN6hipcub18BlockScanAlgorithmE1EEhLj64ELj11ELj100EEvPKT0_PS4_S4_
    .private_segment_fixed_size: 0
    .sgpr_count:     26
    .sgpr_spill_count: 0
    .symbol:         _Z6kernelI14inclusive_scanILN6hipcub18BlockScanAlgorithmE1EEhLj64ELj11ELj100EEvPKT0_PS4_S4_.kd
    .uniform_work_group_size: 1
    .uses_dynamic_stack: false
    .vgpr_count:     38
    .vgpr_spill_count: 0
    .wavefront_size: 64
  - .agpr_count:     0
    .args:
      - .address_space:  global
        .offset:         0
        .size:           8
        .value_kind:     global_buffer
      - .address_space:  global
        .offset:         8
        .size:           8
        .value_kind:     global_buffer
      - .offset:         16
        .size:           1
        .value_kind:     by_value
      - .offset:         24
        .size:           4
        .value_kind:     hidden_block_count_x
      - .offset:         28
        .size:           4
        .value_kind:     hidden_block_count_y
      - .offset:         32
        .size:           4
        .value_kind:     hidden_block_count_z
      - .offset:         36
        .size:           2
        .value_kind:     hidden_group_size_x
      - .offset:         38
        .size:           2
        .value_kind:     hidden_group_size_y
      - .offset:         40
        .size:           2
        .value_kind:     hidden_group_size_z
      - .offset:         42
        .size:           2
        .value_kind:     hidden_remainder_x
      - .offset:         44
        .size:           2
        .value_kind:     hidden_remainder_y
      - .offset:         46
        .size:           2
        .value_kind:     hidden_remainder_z
      - .offset:         64
        .size:           8
        .value_kind:     hidden_global_offset_x
      - .offset:         72
        .size:           8
        .value_kind:     hidden_global_offset_y
      - .offset:         80
        .size:           8
        .value_kind:     hidden_global_offset_z
      - .offset:         88
        .size:           2
        .value_kind:     hidden_grid_dims
    .group_segment_fixed_size: 1
    .kernarg_segment_align: 8
    .kernarg_segment_size: 280
    .language:       OpenCL C
    .language_version:
      - 2
      - 0
    .max_flat_workgroup_size: 64
    .name:           _Z6kernelI14inclusive_scanILN6hipcub18BlockScanAlgorithmE1EEhLj64ELj16ELj100EEvPKT0_PS4_S4_
    .private_segment_fixed_size: 0
    .sgpr_count:     25
    .sgpr_spill_count: 0
    .symbol:         _Z6kernelI14inclusive_scanILN6hipcub18BlockScanAlgorithmE1EEhLj64ELj16ELj100EEvPKT0_PS4_S4_.kd
    .uniform_work_group_size: 1
    .uses_dynamic_stack: false
    .vgpr_count:     20
    .vgpr_spill_count: 0
    .wavefront_size: 64
  - .agpr_count:     0
    .args:
      - .address_space:  global
        .offset:         0
        .size:           8
        .value_kind:     global_buffer
      - .address_space:  global
        .offset:         8
        .size:           8
        .value_kind:     global_buffer
      - .offset:         16
        .size:           4
        .value_kind:     by_value
      - .offset:         24
        .size:           4
        .value_kind:     hidden_block_count_x
      - .offset:         28
        .size:           4
        .value_kind:     hidden_block_count_y
      - .offset:         32
        .size:           4
        .value_kind:     hidden_block_count_z
      - .offset:         36
        .size:           2
        .value_kind:     hidden_group_size_x
      - .offset:         38
        .size:           2
        .value_kind:     hidden_group_size_y
      - .offset:         40
        .size:           2
        .value_kind:     hidden_group_size_z
      - .offset:         42
        .size:           2
        .value_kind:     hidden_remainder_x
      - .offset:         44
        .size:           2
        .value_kind:     hidden_remainder_y
      - .offset:         46
        .size:           2
        .value_kind:     hidden_remainder_z
      - .offset:         64
        .size:           8
        .value_kind:     hidden_global_offset_x
      - .offset:         72
        .size:           8
        .value_kind:     hidden_global_offset_y
      - .offset:         80
        .size:           8
        .value_kind:     hidden_global_offset_z
      - .offset:         88
        .size:           2
        .value_kind:     hidden_grid_dims
    .group_segment_fixed_size: 1056
    .kernarg_segment_align: 8
    .kernarg_segment_size: 280
    .language:       OpenCL C
    .language_version:
      - 2
      - 0
    .max_flat_workgroup_size: 256
    .name:           _Z6kernelI14inclusive_scanILN6hipcub18BlockScanAlgorithmE1EEiLj256ELj1ELj100EEvPKT0_PS4_S4_
    .private_segment_fixed_size: 0
    .sgpr_count:     15
    .sgpr_spill_count: 0
    .symbol:         _Z6kernelI14inclusive_scanILN6hipcub18BlockScanAlgorithmE1EEiLj256ELj1ELj100EEvPKT0_PS4_S4_.kd
    .uniform_work_group_size: 1
    .uses_dynamic_stack: false
    .vgpr_count:     16
    .vgpr_spill_count: 0
    .wavefront_size: 64
  - .agpr_count:     0
    .args:
      - .address_space:  global
        .offset:         0
        .size:           8
        .value_kind:     global_buffer
      - .address_space:  global
        .offset:         8
        .size:           8
        .value_kind:     global_buffer
      - .offset:         16
        .size:           4
        .value_kind:     by_value
      - .offset:         24
        .size:           4
        .value_kind:     hidden_block_count_x
      - .offset:         28
        .size:           4
        .value_kind:     hidden_block_count_y
      - .offset:         32
        .size:           4
        .value_kind:     hidden_block_count_z
      - .offset:         36
        .size:           2
        .value_kind:     hidden_group_size_x
      - .offset:         38
        .size:           2
        .value_kind:     hidden_group_size_y
      - .offset:         40
        .size:           2
        .value_kind:     hidden_group_size_z
      - .offset:         42
        .size:           2
        .value_kind:     hidden_remainder_x
      - .offset:         44
        .size:           2
        .value_kind:     hidden_remainder_y
      - .offset:         46
        .size:           2
        .value_kind:     hidden_remainder_z
      - .offset:         64
        .size:           8
        .value_kind:     hidden_global_offset_x
      - .offset:         72
        .size:           8
        .value_kind:     hidden_global_offset_y
      - .offset:         80
        .size:           8
        .value_kind:     hidden_global_offset_z
      - .offset:         88
        .size:           2
        .value_kind:     hidden_grid_dims
    .group_segment_fixed_size: 1056
    .kernarg_segment_align: 8
    .kernarg_segment_size: 280
    .language:       OpenCL C
    .language_version:
      - 2
      - 0
    .max_flat_workgroup_size: 256
    .name:           _Z6kernelI14inclusive_scanILN6hipcub18BlockScanAlgorithmE1EEiLj256ELj3ELj100EEvPKT0_PS4_S4_
    .private_segment_fixed_size: 0
    .sgpr_count:     17
    .sgpr_spill_count: 0
    .symbol:         _Z6kernelI14inclusive_scanILN6hipcub18BlockScanAlgorithmE1EEiLj256ELj3ELj100EEvPKT0_PS4_S4_.kd
    .uniform_work_group_size: 1
    .uses_dynamic_stack: false
    .vgpr_count:     24
    .vgpr_spill_count: 0
    .wavefront_size: 64
  - .agpr_count:     0
    .args:
      - .address_space:  global
        .offset:         0
        .size:           8
        .value_kind:     global_buffer
      - .address_space:  global
        .offset:         8
        .size:           8
        .value_kind:     global_buffer
      - .offset:         16
        .size:           4
        .value_kind:     by_value
      - .offset:         24
        .size:           4
        .value_kind:     hidden_block_count_x
      - .offset:         28
        .size:           4
        .value_kind:     hidden_block_count_y
      - .offset:         32
        .size:           4
        .value_kind:     hidden_block_count_z
      - .offset:         36
        .size:           2
        .value_kind:     hidden_group_size_x
      - .offset:         38
        .size:           2
        .value_kind:     hidden_group_size_y
      - .offset:         40
        .size:           2
        .value_kind:     hidden_group_size_z
      - .offset:         42
        .size:           2
        .value_kind:     hidden_remainder_x
      - .offset:         44
        .size:           2
        .value_kind:     hidden_remainder_y
      - .offset:         46
        .size:           2
        .value_kind:     hidden_remainder_z
      - .offset:         64
        .size:           8
        .value_kind:     hidden_global_offset_x
      - .offset:         72
        .size:           8
        .value_kind:     hidden_global_offset_y
      - .offset:         80
        .size:           8
        .value_kind:     hidden_global_offset_z
      - .offset:         88
        .size:           2
        .value_kind:     hidden_grid_dims
    .group_segment_fixed_size: 1056
    .kernarg_segment_align: 8
    .kernarg_segment_size: 280
    .language:       OpenCL C
    .language_version:
      - 2
      - 0
    .max_flat_workgroup_size: 256
    .name:           _Z6kernelI14inclusive_scanILN6hipcub18BlockScanAlgorithmE1EEiLj256ELj4ELj100EEvPKT0_PS4_S4_
    .private_segment_fixed_size: 0
    .sgpr_count:     17
    .sgpr_spill_count: 0
    .symbol:         _Z6kernelI14inclusive_scanILN6hipcub18BlockScanAlgorithmE1EEiLj256ELj4ELj100EEvPKT0_PS4_S4_.kd
    .uniform_work_group_size: 1
    .uses_dynamic_stack: false
    .vgpr_count:     21
    .vgpr_spill_count: 0
    .wavefront_size: 64
  - .agpr_count:     0
    .args:
      - .address_space:  global
        .offset:         0
        .size:           8
        .value_kind:     global_buffer
      - .address_space:  global
        .offset:         8
        .size:           8
        .value_kind:     global_buffer
      - .offset:         16
        .size:           4
        .value_kind:     by_value
      - .offset:         24
        .size:           4
        .value_kind:     hidden_block_count_x
      - .offset:         28
        .size:           4
        .value_kind:     hidden_block_count_y
      - .offset:         32
        .size:           4
        .value_kind:     hidden_block_count_z
      - .offset:         36
        .size:           2
        .value_kind:     hidden_group_size_x
      - .offset:         38
        .size:           2
        .value_kind:     hidden_group_size_y
      - .offset:         40
        .size:           2
        .value_kind:     hidden_group_size_z
      - .offset:         42
        .size:           2
        .value_kind:     hidden_remainder_x
      - .offset:         44
        .size:           2
        .value_kind:     hidden_remainder_y
      - .offset:         46
        .size:           2
        .value_kind:     hidden_remainder_z
      - .offset:         64
        .size:           8
        .value_kind:     hidden_global_offset_x
      - .offset:         72
        .size:           8
        .value_kind:     hidden_global_offset_y
      - .offset:         80
        .size:           8
        .value_kind:     hidden_global_offset_z
      - .offset:         88
        .size:           2
        .value_kind:     hidden_grid_dims
    .group_segment_fixed_size: 1056
    .kernarg_segment_align: 8
    .kernarg_segment_size: 280
    .language:       OpenCL C
    .language_version:
      - 2
      - 0
    .max_flat_workgroup_size: 256
    .name:           _Z6kernelI14inclusive_scanILN6hipcub18BlockScanAlgorithmE1EEiLj256ELj8ELj100EEvPKT0_PS4_S4_
    .private_segment_fixed_size: 0
    .sgpr_count:     17
    .sgpr_spill_count: 0
    .symbol:         _Z6kernelI14inclusive_scanILN6hipcub18BlockScanAlgorithmE1EEiLj256ELj8ELj100EEvPKT0_PS4_S4_.kd
    .uniform_work_group_size: 1
    .uses_dynamic_stack: false
    .vgpr_count:     25
    .vgpr_spill_count: 0
    .wavefront_size: 64
  - .agpr_count:     0
    .args:
      - .address_space:  global
        .offset:         0
        .size:           8
        .value_kind:     global_buffer
      - .address_space:  global
        .offset:         8
        .size:           8
        .value_kind:     global_buffer
      - .offset:         16
        .size:           4
        .value_kind:     by_value
      - .offset:         24
        .size:           4
        .value_kind:     hidden_block_count_x
      - .offset:         28
        .size:           4
        .value_kind:     hidden_block_count_y
      - .offset:         32
        .size:           4
        .value_kind:     hidden_block_count_z
      - .offset:         36
        .size:           2
        .value_kind:     hidden_group_size_x
      - .offset:         38
        .size:           2
        .value_kind:     hidden_group_size_y
      - .offset:         40
        .size:           2
        .value_kind:     hidden_group_size_z
      - .offset:         42
        .size:           2
        .value_kind:     hidden_remainder_x
      - .offset:         44
        .size:           2
        .value_kind:     hidden_remainder_y
      - .offset:         46
        .size:           2
        .value_kind:     hidden_remainder_z
      - .offset:         64
        .size:           8
        .value_kind:     hidden_global_offset_x
      - .offset:         72
        .size:           8
        .value_kind:     hidden_global_offset_y
      - .offset:         80
        .size:           8
        .value_kind:     hidden_global_offset_z
      - .offset:         88
        .size:           2
        .value_kind:     hidden_grid_dims
    .group_segment_fixed_size: 1056
    .kernarg_segment_align: 8
    .kernarg_segment_size: 280
    .language:       OpenCL C
    .language_version:
      - 2
      - 0
    .max_flat_workgroup_size: 256
    .name:           _Z6kernelI14inclusive_scanILN6hipcub18BlockScanAlgorithmE1EEiLj256ELj11ELj100EEvPKT0_PS4_S4_
    .private_segment_fixed_size: 0
    .sgpr_count:     17
    .sgpr_spill_count: 0
    .symbol:         _Z6kernelI14inclusive_scanILN6hipcub18BlockScanAlgorithmE1EEiLj256ELj11ELj100EEvPKT0_PS4_S4_.kd
    .uniform_work_group_size: 1
    .uses_dynamic_stack: false
    .vgpr_count:     48
    .vgpr_spill_count: 0
    .wavefront_size: 64
  - .agpr_count:     0
    .args:
      - .address_space:  global
        .offset:         0
        .size:           8
        .value_kind:     global_buffer
      - .address_space:  global
        .offset:         8
        .size:           8
        .value_kind:     global_buffer
      - .offset:         16
        .size:           4
        .value_kind:     by_value
      - .offset:         24
        .size:           4
        .value_kind:     hidden_block_count_x
      - .offset:         28
        .size:           4
        .value_kind:     hidden_block_count_y
      - .offset:         32
        .size:           4
        .value_kind:     hidden_block_count_z
      - .offset:         36
        .size:           2
        .value_kind:     hidden_group_size_x
      - .offset:         38
        .size:           2
        .value_kind:     hidden_group_size_y
      - .offset:         40
        .size:           2
        .value_kind:     hidden_group_size_z
      - .offset:         42
        .size:           2
        .value_kind:     hidden_remainder_x
      - .offset:         44
        .size:           2
        .value_kind:     hidden_remainder_y
      - .offset:         46
        .size:           2
        .value_kind:     hidden_remainder_z
      - .offset:         64
        .size:           8
        .value_kind:     hidden_global_offset_x
      - .offset:         72
        .size:           8
        .value_kind:     hidden_global_offset_y
      - .offset:         80
        .size:           8
        .value_kind:     hidden_global_offset_z
      - .offset:         88
        .size:           2
        .value_kind:     hidden_grid_dims
    .group_segment_fixed_size: 1056
    .kernarg_segment_align: 8
    .kernarg_segment_size: 280
    .language:       OpenCL C
    .language_version:
      - 2
      - 0
    .max_flat_workgroup_size: 256
    .name:           _Z6kernelI14inclusive_scanILN6hipcub18BlockScanAlgorithmE1EEiLj256ELj16ELj100EEvPKT0_PS4_S4_
    .private_segment_fixed_size: 0
    .sgpr_count:     17
    .sgpr_spill_count: 0
    .symbol:         _Z6kernelI14inclusive_scanILN6hipcub18BlockScanAlgorithmE1EEiLj256ELj16ELj100EEvPKT0_PS4_S4_.kd
    .uniform_work_group_size: 1
    .uses_dynamic_stack: false
    .vgpr_count:     32
    .vgpr_spill_count: 0
    .wavefront_size: 64
  - .agpr_count:     0
    .args:
      - .address_space:  global
        .offset:         0
        .size:           8
        .value_kind:     global_buffer
      - .address_space:  global
        .offset:         8
        .size:           8
        .value_kind:     global_buffer
      - .offset:         16
        .size:           4
        .value_kind:     by_value
      - .offset:         24
        .size:           4
        .value_kind:     hidden_block_count_x
      - .offset:         28
        .size:           4
        .value_kind:     hidden_block_count_y
      - .offset:         32
        .size:           4
        .value_kind:     hidden_block_count_z
      - .offset:         36
        .size:           2
        .value_kind:     hidden_group_size_x
      - .offset:         38
        .size:           2
        .value_kind:     hidden_group_size_y
      - .offset:         40
        .size:           2
        .value_kind:     hidden_group_size_z
      - .offset:         42
        .size:           2
        .value_kind:     hidden_remainder_x
      - .offset:         44
        .size:           2
        .value_kind:     hidden_remainder_y
      - .offset:         46
        .size:           2
        .value_kind:     hidden_remainder_z
      - .offset:         64
        .size:           8
        .value_kind:     hidden_global_offset_x
      - .offset:         72
        .size:           8
        .value_kind:     hidden_global_offset_y
      - .offset:         80
        .size:           8
        .value_kind:     hidden_global_offset_z
      - .offset:         88
        .size:           2
        .value_kind:     hidden_grid_dims
    .group_segment_fixed_size: 1056
    .kernarg_segment_align: 8
    .kernarg_segment_size: 280
    .language:       OpenCL C
    .language_version:
      - 2
      - 0
    .max_flat_workgroup_size: 256
    .name:           _Z6kernelI14inclusive_scanILN6hipcub18BlockScanAlgorithmE1EEfLj256ELj1ELj100EEvPKT0_PS4_S4_
    .private_segment_fixed_size: 0
    .sgpr_count:     15
    .sgpr_spill_count: 0
    .symbol:         _Z6kernelI14inclusive_scanILN6hipcub18BlockScanAlgorithmE1EEfLj256ELj1ELj100EEvPKT0_PS4_S4_.kd
    .uniform_work_group_size: 1
    .uses_dynamic_stack: false
    .vgpr_count:     16
    .vgpr_spill_count: 0
    .wavefront_size: 64
  - .agpr_count:     0
    .args:
      - .address_space:  global
        .offset:         0
        .size:           8
        .value_kind:     global_buffer
      - .address_space:  global
        .offset:         8
        .size:           8
        .value_kind:     global_buffer
      - .offset:         16
        .size:           4
        .value_kind:     by_value
      - .offset:         24
        .size:           4
        .value_kind:     hidden_block_count_x
      - .offset:         28
        .size:           4
        .value_kind:     hidden_block_count_y
      - .offset:         32
        .size:           4
        .value_kind:     hidden_block_count_z
      - .offset:         36
        .size:           2
        .value_kind:     hidden_group_size_x
      - .offset:         38
        .size:           2
        .value_kind:     hidden_group_size_y
      - .offset:         40
        .size:           2
        .value_kind:     hidden_group_size_z
      - .offset:         42
        .size:           2
        .value_kind:     hidden_remainder_x
      - .offset:         44
        .size:           2
        .value_kind:     hidden_remainder_y
      - .offset:         46
        .size:           2
        .value_kind:     hidden_remainder_z
      - .offset:         64
        .size:           8
        .value_kind:     hidden_global_offset_x
      - .offset:         72
        .size:           8
        .value_kind:     hidden_global_offset_y
      - .offset:         80
        .size:           8
        .value_kind:     hidden_global_offset_z
      - .offset:         88
        .size:           2
        .value_kind:     hidden_grid_dims
    .group_segment_fixed_size: 1056
    .kernarg_segment_align: 8
    .kernarg_segment_size: 280
    .language:       OpenCL C
    .language_version:
      - 2
      - 0
    .max_flat_workgroup_size: 256
    .name:           _Z6kernelI14inclusive_scanILN6hipcub18BlockScanAlgorithmE1EEfLj256ELj3ELj100EEvPKT0_PS4_S4_
    .private_segment_fixed_size: 0
    .sgpr_count:     17
    .sgpr_spill_count: 0
    .symbol:         _Z6kernelI14inclusive_scanILN6hipcub18BlockScanAlgorithmE1EEfLj256ELj3ELj100EEvPKT0_PS4_S4_.kd
    .uniform_work_group_size: 1
    .uses_dynamic_stack: false
    .vgpr_count:     24
    .vgpr_spill_count: 0
    .wavefront_size: 64
  - .agpr_count:     0
    .args:
      - .address_space:  global
        .offset:         0
        .size:           8
        .value_kind:     global_buffer
      - .address_space:  global
        .offset:         8
        .size:           8
        .value_kind:     global_buffer
      - .offset:         16
        .size:           4
        .value_kind:     by_value
      - .offset:         24
        .size:           4
        .value_kind:     hidden_block_count_x
      - .offset:         28
        .size:           4
        .value_kind:     hidden_block_count_y
      - .offset:         32
        .size:           4
        .value_kind:     hidden_block_count_z
      - .offset:         36
        .size:           2
        .value_kind:     hidden_group_size_x
      - .offset:         38
        .size:           2
        .value_kind:     hidden_group_size_y
      - .offset:         40
        .size:           2
        .value_kind:     hidden_group_size_z
      - .offset:         42
        .size:           2
        .value_kind:     hidden_remainder_x
      - .offset:         44
        .size:           2
        .value_kind:     hidden_remainder_y
      - .offset:         46
        .size:           2
        .value_kind:     hidden_remainder_z
      - .offset:         64
        .size:           8
        .value_kind:     hidden_global_offset_x
      - .offset:         72
        .size:           8
        .value_kind:     hidden_global_offset_y
      - .offset:         80
        .size:           8
        .value_kind:     hidden_global_offset_z
      - .offset:         88
        .size:           2
        .value_kind:     hidden_grid_dims
    .group_segment_fixed_size: 1056
    .kernarg_segment_align: 8
    .kernarg_segment_size: 280
    .language:       OpenCL C
    .language_version:
      - 2
      - 0
    .max_flat_workgroup_size: 256
    .name:           _Z6kernelI14inclusive_scanILN6hipcub18BlockScanAlgorithmE1EEfLj256ELj4ELj100EEvPKT0_PS4_S4_
    .private_segment_fixed_size: 0
    .sgpr_count:     17
    .sgpr_spill_count: 0
    .symbol:         _Z6kernelI14inclusive_scanILN6hipcub18BlockScanAlgorithmE1EEfLj256ELj4ELj100EEvPKT0_PS4_S4_.kd
    .uniform_work_group_size: 1
    .uses_dynamic_stack: false
    .vgpr_count:     21
    .vgpr_spill_count: 0
    .wavefront_size: 64
  - .agpr_count:     0
    .args:
      - .address_space:  global
        .offset:         0
        .size:           8
        .value_kind:     global_buffer
      - .address_space:  global
        .offset:         8
        .size:           8
        .value_kind:     global_buffer
      - .offset:         16
        .size:           4
        .value_kind:     by_value
      - .offset:         24
        .size:           4
        .value_kind:     hidden_block_count_x
      - .offset:         28
        .size:           4
        .value_kind:     hidden_block_count_y
      - .offset:         32
        .size:           4
        .value_kind:     hidden_block_count_z
      - .offset:         36
        .size:           2
        .value_kind:     hidden_group_size_x
      - .offset:         38
        .size:           2
        .value_kind:     hidden_group_size_y
      - .offset:         40
        .size:           2
        .value_kind:     hidden_group_size_z
      - .offset:         42
        .size:           2
        .value_kind:     hidden_remainder_x
      - .offset:         44
        .size:           2
        .value_kind:     hidden_remainder_y
      - .offset:         46
        .size:           2
        .value_kind:     hidden_remainder_z
      - .offset:         64
        .size:           8
        .value_kind:     hidden_global_offset_x
      - .offset:         72
        .size:           8
        .value_kind:     hidden_global_offset_y
      - .offset:         80
        .size:           8
        .value_kind:     hidden_global_offset_z
      - .offset:         88
        .size:           2
        .value_kind:     hidden_grid_dims
    .group_segment_fixed_size: 1056
    .kernarg_segment_align: 8
    .kernarg_segment_size: 280
    .language:       OpenCL C
    .language_version:
      - 2
      - 0
    .max_flat_workgroup_size: 256
    .name:           _Z6kernelI14inclusive_scanILN6hipcub18BlockScanAlgorithmE1EEfLj256ELj8ELj100EEvPKT0_PS4_S4_
    .private_segment_fixed_size: 0
    .sgpr_count:     17
    .sgpr_spill_count: 0
    .symbol:         _Z6kernelI14inclusive_scanILN6hipcub18BlockScanAlgorithmE1EEfLj256ELj8ELj100EEvPKT0_PS4_S4_.kd
    .uniform_work_group_size: 1
    .uses_dynamic_stack: false
    .vgpr_count:     25
    .vgpr_spill_count: 0
    .wavefront_size: 64
  - .agpr_count:     0
    .args:
      - .address_space:  global
        .offset:         0
        .size:           8
        .value_kind:     global_buffer
      - .address_space:  global
        .offset:         8
        .size:           8
        .value_kind:     global_buffer
      - .offset:         16
        .size:           4
        .value_kind:     by_value
      - .offset:         24
        .size:           4
        .value_kind:     hidden_block_count_x
      - .offset:         28
        .size:           4
        .value_kind:     hidden_block_count_y
      - .offset:         32
        .size:           4
        .value_kind:     hidden_block_count_z
      - .offset:         36
        .size:           2
        .value_kind:     hidden_group_size_x
      - .offset:         38
        .size:           2
        .value_kind:     hidden_group_size_y
      - .offset:         40
        .size:           2
        .value_kind:     hidden_group_size_z
      - .offset:         42
        .size:           2
        .value_kind:     hidden_remainder_x
      - .offset:         44
        .size:           2
        .value_kind:     hidden_remainder_y
      - .offset:         46
        .size:           2
        .value_kind:     hidden_remainder_z
      - .offset:         64
        .size:           8
        .value_kind:     hidden_global_offset_x
      - .offset:         72
        .size:           8
        .value_kind:     hidden_global_offset_y
      - .offset:         80
        .size:           8
        .value_kind:     hidden_global_offset_z
      - .offset:         88
        .size:           2
        .value_kind:     hidden_grid_dims
    .group_segment_fixed_size: 1056
    .kernarg_segment_align: 8
    .kernarg_segment_size: 280
    .language:       OpenCL C
    .language_version:
      - 2
      - 0
    .max_flat_workgroup_size: 256
    .name:           _Z6kernelI14inclusive_scanILN6hipcub18BlockScanAlgorithmE1EEfLj256ELj11ELj100EEvPKT0_PS4_S4_
    .private_segment_fixed_size: 0
    .sgpr_count:     17
    .sgpr_spill_count: 0
    .symbol:         _Z6kernelI14inclusive_scanILN6hipcub18BlockScanAlgorithmE1EEfLj256ELj11ELj100EEvPKT0_PS4_S4_.kd
    .uniform_work_group_size: 1
    .uses_dynamic_stack: false
    .vgpr_count:     48
    .vgpr_spill_count: 0
    .wavefront_size: 64
  - .agpr_count:     0
    .args:
      - .address_space:  global
        .offset:         0
        .size:           8
        .value_kind:     global_buffer
      - .address_space:  global
        .offset:         8
        .size:           8
        .value_kind:     global_buffer
      - .offset:         16
        .size:           4
        .value_kind:     by_value
      - .offset:         24
        .size:           4
        .value_kind:     hidden_block_count_x
      - .offset:         28
        .size:           4
        .value_kind:     hidden_block_count_y
      - .offset:         32
        .size:           4
        .value_kind:     hidden_block_count_z
      - .offset:         36
        .size:           2
        .value_kind:     hidden_group_size_x
      - .offset:         38
        .size:           2
        .value_kind:     hidden_group_size_y
      - .offset:         40
        .size:           2
        .value_kind:     hidden_group_size_z
      - .offset:         42
        .size:           2
        .value_kind:     hidden_remainder_x
      - .offset:         44
        .size:           2
        .value_kind:     hidden_remainder_y
      - .offset:         46
        .size:           2
        .value_kind:     hidden_remainder_z
      - .offset:         64
        .size:           8
        .value_kind:     hidden_global_offset_x
      - .offset:         72
        .size:           8
        .value_kind:     hidden_global_offset_y
      - .offset:         80
        .size:           8
        .value_kind:     hidden_global_offset_z
      - .offset:         88
        .size:           2
        .value_kind:     hidden_grid_dims
    .group_segment_fixed_size: 1056
    .kernarg_segment_align: 8
    .kernarg_segment_size: 280
    .language:       OpenCL C
    .language_version:
      - 2
      - 0
    .max_flat_workgroup_size: 256
    .name:           _Z6kernelI14inclusive_scanILN6hipcub18BlockScanAlgorithmE1EEfLj256ELj16ELj100EEvPKT0_PS4_S4_
    .private_segment_fixed_size: 0
    .sgpr_count:     17
    .sgpr_spill_count: 0
    .symbol:         _Z6kernelI14inclusive_scanILN6hipcub18BlockScanAlgorithmE1EEfLj256ELj16ELj100EEvPKT0_PS4_S4_.kd
    .uniform_work_group_size: 1
    .uses_dynamic_stack: false
    .vgpr_count:     32
    .vgpr_spill_count: 0
    .wavefront_size: 64
  - .agpr_count:     0
    .args:
      - .address_space:  global
        .offset:         0
        .size:           8
        .value_kind:     global_buffer
      - .address_space:  global
        .offset:         8
        .size:           8
        .value_kind:     global_buffer
      - .offset:         16
        .size:           8
        .value_kind:     by_value
      - .offset:         24
        .size:           4
        .value_kind:     hidden_block_count_x
      - .offset:         28
        .size:           4
        .value_kind:     hidden_block_count_y
      - .offset:         32
        .size:           4
        .value_kind:     hidden_block_count_z
      - .offset:         36
        .size:           2
        .value_kind:     hidden_group_size_x
      - .offset:         38
        .size:           2
        .value_kind:     hidden_group_size_y
      - .offset:         40
        .size:           2
        .value_kind:     hidden_group_size_z
      - .offset:         42
        .size:           2
        .value_kind:     hidden_remainder_x
      - .offset:         44
        .size:           2
        .value_kind:     hidden_remainder_y
      - .offset:         46
        .size:           2
        .value_kind:     hidden_remainder_z
      - .offset:         64
        .size:           8
        .value_kind:     hidden_global_offset_x
      - .offset:         72
        .size:           8
        .value_kind:     hidden_global_offset_y
      - .offset:         80
        .size:           8
        .value_kind:     hidden_global_offset_z
      - .offset:         88
        .size:           2
        .value_kind:     hidden_grid_dims
    .group_segment_fixed_size: 2112
    .kernarg_segment_align: 8
    .kernarg_segment_size: 280
    .language:       OpenCL C
    .language_version:
      - 2
      - 0
    .max_flat_workgroup_size: 256
    .name:           _Z6kernelI14inclusive_scanILN6hipcub18BlockScanAlgorithmE1EEdLj256ELj1ELj100EEvPKT0_PS4_S4_
    .private_segment_fixed_size: 0
    .sgpr_count:     15
    .sgpr_spill_count: 0
    .symbol:         _Z6kernelI14inclusive_scanILN6hipcub18BlockScanAlgorithmE1EEdLj256ELj1ELj100EEvPKT0_PS4_S4_.kd
    .uniform_work_group_size: 1
    .uses_dynamic_stack: false
    .vgpr_count:     24
    .vgpr_spill_count: 0
    .wavefront_size: 64
  - .agpr_count:     0
    .args:
      - .address_space:  global
        .offset:         0
        .size:           8
        .value_kind:     global_buffer
      - .address_space:  global
        .offset:         8
        .size:           8
        .value_kind:     global_buffer
      - .offset:         16
        .size:           8
        .value_kind:     by_value
      - .offset:         24
        .size:           4
        .value_kind:     hidden_block_count_x
      - .offset:         28
        .size:           4
        .value_kind:     hidden_block_count_y
      - .offset:         32
        .size:           4
        .value_kind:     hidden_block_count_z
      - .offset:         36
        .size:           2
        .value_kind:     hidden_group_size_x
      - .offset:         38
        .size:           2
        .value_kind:     hidden_group_size_y
      - .offset:         40
        .size:           2
        .value_kind:     hidden_group_size_z
      - .offset:         42
        .size:           2
        .value_kind:     hidden_remainder_x
      - .offset:         44
        .size:           2
        .value_kind:     hidden_remainder_y
      - .offset:         46
        .size:           2
        .value_kind:     hidden_remainder_z
      - .offset:         64
        .size:           8
        .value_kind:     hidden_global_offset_x
      - .offset:         72
        .size:           8
        .value_kind:     hidden_global_offset_y
      - .offset:         80
        .size:           8
        .value_kind:     hidden_global_offset_z
      - .offset:         88
        .size:           2
        .value_kind:     hidden_grid_dims
    .group_segment_fixed_size: 2112
    .kernarg_segment_align: 8
    .kernarg_segment_size: 280
    .language:       OpenCL C
    .language_version:
      - 2
      - 0
    .max_flat_workgroup_size: 256
    .name:           _Z6kernelI14inclusive_scanILN6hipcub18BlockScanAlgorithmE1EEdLj256ELj3ELj100EEvPKT0_PS4_S4_
    .private_segment_fixed_size: 0
    .sgpr_count:     17
    .sgpr_spill_count: 0
    .symbol:         _Z6kernelI14inclusive_scanILN6hipcub18BlockScanAlgorithmE1EEdLj256ELj3ELj100EEvPKT0_PS4_S4_.kd
    .uniform_work_group_size: 1
    .uses_dynamic_stack: false
    .vgpr_count:     34
    .vgpr_spill_count: 0
    .wavefront_size: 64
  - .agpr_count:     0
    .args:
      - .address_space:  global
        .offset:         0
        .size:           8
        .value_kind:     global_buffer
      - .address_space:  global
        .offset:         8
        .size:           8
        .value_kind:     global_buffer
      - .offset:         16
        .size:           8
        .value_kind:     by_value
      - .offset:         24
        .size:           4
        .value_kind:     hidden_block_count_x
      - .offset:         28
        .size:           4
        .value_kind:     hidden_block_count_y
      - .offset:         32
        .size:           4
        .value_kind:     hidden_block_count_z
      - .offset:         36
        .size:           2
        .value_kind:     hidden_group_size_x
      - .offset:         38
        .size:           2
        .value_kind:     hidden_group_size_y
      - .offset:         40
        .size:           2
        .value_kind:     hidden_group_size_z
      - .offset:         42
        .size:           2
        .value_kind:     hidden_remainder_x
      - .offset:         44
        .size:           2
        .value_kind:     hidden_remainder_y
      - .offset:         46
        .size:           2
        .value_kind:     hidden_remainder_z
      - .offset:         64
        .size:           8
        .value_kind:     hidden_global_offset_x
      - .offset:         72
        .size:           8
        .value_kind:     hidden_global_offset_y
      - .offset:         80
        .size:           8
        .value_kind:     hidden_global_offset_z
      - .offset:         88
        .size:           2
        .value_kind:     hidden_grid_dims
    .group_segment_fixed_size: 2112
    .kernarg_segment_align: 8
    .kernarg_segment_size: 280
    .language:       OpenCL C
    .language_version:
      - 2
      - 0
    .max_flat_workgroup_size: 256
    .name:           _Z6kernelI14inclusive_scanILN6hipcub18BlockScanAlgorithmE1EEdLj256ELj4ELj100EEvPKT0_PS4_S4_
    .private_segment_fixed_size: 0
    .sgpr_count:     17
    .sgpr_spill_count: 0
    .symbol:         _Z6kernelI14inclusive_scanILN6hipcub18BlockScanAlgorithmE1EEdLj256ELj4ELj100EEvPKT0_PS4_S4_.kd
    .uniform_work_group_size: 1
    .uses_dynamic_stack: false
    .vgpr_count:     32
    .vgpr_spill_count: 0
    .wavefront_size: 64
  - .agpr_count:     0
    .args:
      - .address_space:  global
        .offset:         0
        .size:           8
        .value_kind:     global_buffer
      - .address_space:  global
        .offset:         8
        .size:           8
        .value_kind:     global_buffer
      - .offset:         16
        .size:           8
        .value_kind:     by_value
      - .offset:         24
        .size:           4
        .value_kind:     hidden_block_count_x
      - .offset:         28
        .size:           4
        .value_kind:     hidden_block_count_y
      - .offset:         32
        .size:           4
        .value_kind:     hidden_block_count_z
      - .offset:         36
        .size:           2
        .value_kind:     hidden_group_size_x
      - .offset:         38
        .size:           2
        .value_kind:     hidden_group_size_y
      - .offset:         40
        .size:           2
        .value_kind:     hidden_group_size_z
      - .offset:         42
        .size:           2
        .value_kind:     hidden_remainder_x
      - .offset:         44
        .size:           2
        .value_kind:     hidden_remainder_y
      - .offset:         46
        .size:           2
        .value_kind:     hidden_remainder_z
      - .offset:         64
        .size:           8
        .value_kind:     hidden_global_offset_x
      - .offset:         72
        .size:           8
        .value_kind:     hidden_global_offset_y
      - .offset:         80
        .size:           8
        .value_kind:     hidden_global_offset_z
      - .offset:         88
        .size:           2
        .value_kind:     hidden_grid_dims
    .group_segment_fixed_size: 2112
    .kernarg_segment_align: 8
    .kernarg_segment_size: 280
    .language:       OpenCL C
    .language_version:
      - 2
      - 0
    .max_flat_workgroup_size: 256
    .name:           _Z6kernelI14inclusive_scanILN6hipcub18BlockScanAlgorithmE1EEdLj256ELj8ELj100EEvPKT0_PS4_S4_
    .private_segment_fixed_size: 0
    .sgpr_count:     17
    .sgpr_spill_count: 0
    .symbol:         _Z6kernelI14inclusive_scanILN6hipcub18BlockScanAlgorithmE1EEdLj256ELj8ELj100EEvPKT0_PS4_S4_.kd
    .uniform_work_group_size: 1
    .uses_dynamic_stack: false
    .vgpr_count:     37
    .vgpr_spill_count: 0
    .wavefront_size: 64
  - .agpr_count:     0
    .args:
      - .address_space:  global
        .offset:         0
        .size:           8
        .value_kind:     global_buffer
      - .address_space:  global
        .offset:         8
        .size:           8
        .value_kind:     global_buffer
      - .offset:         16
        .size:           8
        .value_kind:     by_value
      - .offset:         24
        .size:           4
        .value_kind:     hidden_block_count_x
      - .offset:         28
        .size:           4
        .value_kind:     hidden_block_count_y
      - .offset:         32
        .size:           4
        .value_kind:     hidden_block_count_z
      - .offset:         36
        .size:           2
        .value_kind:     hidden_group_size_x
      - .offset:         38
        .size:           2
        .value_kind:     hidden_group_size_y
      - .offset:         40
        .size:           2
        .value_kind:     hidden_group_size_z
      - .offset:         42
        .size:           2
        .value_kind:     hidden_remainder_x
      - .offset:         44
        .size:           2
        .value_kind:     hidden_remainder_y
      - .offset:         46
        .size:           2
        .value_kind:     hidden_remainder_z
      - .offset:         64
        .size:           8
        .value_kind:     hidden_global_offset_x
      - .offset:         72
        .size:           8
        .value_kind:     hidden_global_offset_y
      - .offset:         80
        .size:           8
        .value_kind:     hidden_global_offset_z
      - .offset:         88
        .size:           2
        .value_kind:     hidden_grid_dims
    .group_segment_fixed_size: 2112
    .kernarg_segment_align: 8
    .kernarg_segment_size: 280
    .language:       OpenCL C
    .language_version:
      - 2
      - 0
    .max_flat_workgroup_size: 256
    .name:           _Z6kernelI14inclusive_scanILN6hipcub18BlockScanAlgorithmE1EEdLj256ELj11ELj100EEvPKT0_PS4_S4_
    .private_segment_fixed_size: 0
    .sgpr_count:     17
    .sgpr_spill_count: 0
    .symbol:         _Z6kernelI14inclusive_scanILN6hipcub18BlockScanAlgorithmE1EEdLj256ELj11ELj100EEvPKT0_PS4_S4_.kd
    .uniform_work_group_size: 1
    .uses_dynamic_stack: false
    .vgpr_count:     63
    .vgpr_spill_count: 0
    .wavefront_size: 64
  - .agpr_count:     0
    .args:
      - .address_space:  global
        .offset:         0
        .size:           8
        .value_kind:     global_buffer
      - .address_space:  global
        .offset:         8
        .size:           8
        .value_kind:     global_buffer
      - .offset:         16
        .size:           8
        .value_kind:     by_value
      - .offset:         24
        .size:           4
        .value_kind:     hidden_block_count_x
      - .offset:         28
        .size:           4
        .value_kind:     hidden_block_count_y
      - .offset:         32
        .size:           4
        .value_kind:     hidden_block_count_z
      - .offset:         36
        .size:           2
        .value_kind:     hidden_group_size_x
      - .offset:         38
        .size:           2
        .value_kind:     hidden_group_size_y
      - .offset:         40
        .size:           2
        .value_kind:     hidden_group_size_z
      - .offset:         42
        .size:           2
        .value_kind:     hidden_remainder_x
      - .offset:         44
        .size:           2
        .value_kind:     hidden_remainder_y
      - .offset:         46
        .size:           2
        .value_kind:     hidden_remainder_z
      - .offset:         64
        .size:           8
        .value_kind:     hidden_global_offset_x
      - .offset:         72
        .size:           8
        .value_kind:     hidden_global_offset_y
      - .offset:         80
        .size:           8
        .value_kind:     hidden_global_offset_z
      - .offset:         88
        .size:           2
        .value_kind:     hidden_grid_dims
    .group_segment_fixed_size: 2112
    .kernarg_segment_align: 8
    .kernarg_segment_size: 280
    .language:       OpenCL C
    .language_version:
      - 2
      - 0
    .max_flat_workgroup_size: 256
    .name:           _Z6kernelI14inclusive_scanILN6hipcub18BlockScanAlgorithmE1EEdLj256ELj16ELj100EEvPKT0_PS4_S4_
    .private_segment_fixed_size: 0
    .sgpr_count:     17
    .sgpr_spill_count: 0
    .symbol:         _Z6kernelI14inclusive_scanILN6hipcub18BlockScanAlgorithmE1EEdLj256ELj16ELj100EEvPKT0_PS4_S4_.kd
    .uniform_work_group_size: 1
    .uses_dynamic_stack: false
    .vgpr_count:     53
    .vgpr_spill_count: 0
    .wavefront_size: 64
  - .agpr_count:     0
    .args:
      - .address_space:  global
        .offset:         0
        .size:           8
        .value_kind:     global_buffer
      - .address_space:  global
        .offset:         8
        .size:           8
        .value_kind:     global_buffer
      - .offset:         16
        .size:           1
        .value_kind:     by_value
      - .offset:         24
        .size:           4
        .value_kind:     hidden_block_count_x
      - .offset:         28
        .size:           4
        .value_kind:     hidden_block_count_y
      - .offset:         32
        .size:           4
        .value_kind:     hidden_block_count_z
      - .offset:         36
        .size:           2
        .value_kind:     hidden_group_size_x
      - .offset:         38
        .size:           2
        .value_kind:     hidden_group_size_y
      - .offset:         40
        .size:           2
        .value_kind:     hidden_group_size_z
      - .offset:         42
        .size:           2
        .value_kind:     hidden_remainder_x
      - .offset:         44
        .size:           2
        .value_kind:     hidden_remainder_y
      - .offset:         46
        .size:           2
        .value_kind:     hidden_remainder_z
      - .offset:         64
        .size:           8
        .value_kind:     hidden_global_offset_x
      - .offset:         72
        .size:           8
        .value_kind:     hidden_global_offset_y
      - .offset:         80
        .size:           8
        .value_kind:     hidden_global_offset_z
      - .offset:         88
        .size:           2
        .value_kind:     hidden_grid_dims
    .group_segment_fixed_size: 264
    .kernarg_segment_align: 8
    .kernarg_segment_size: 280
    .language:       OpenCL C
    .language_version:
      - 2
      - 0
    .max_flat_workgroup_size: 256
    .name:           _Z6kernelI14inclusive_scanILN6hipcub18BlockScanAlgorithmE1EEhLj256ELj1ELj100EEvPKT0_PS4_S4_
    .private_segment_fixed_size: 0
    .sgpr_count:     15
    .sgpr_spill_count: 0
    .symbol:         _Z6kernelI14inclusive_scanILN6hipcub18BlockScanAlgorithmE1EEhLj256ELj1ELj100EEvPKT0_PS4_S4_.kd
    .uniform_work_group_size: 1
    .uses_dynamic_stack: false
    .vgpr_count:     16
    .vgpr_spill_count: 0
    .wavefront_size: 64
  - .agpr_count:     0
    .args:
      - .address_space:  global
        .offset:         0
        .size:           8
        .value_kind:     global_buffer
      - .address_space:  global
        .offset:         8
        .size:           8
        .value_kind:     global_buffer
      - .offset:         16
        .size:           1
        .value_kind:     by_value
      - .offset:         24
        .size:           4
        .value_kind:     hidden_block_count_x
      - .offset:         28
        .size:           4
        .value_kind:     hidden_block_count_y
      - .offset:         32
        .size:           4
        .value_kind:     hidden_block_count_z
      - .offset:         36
        .size:           2
        .value_kind:     hidden_group_size_x
      - .offset:         38
        .size:           2
        .value_kind:     hidden_group_size_y
      - .offset:         40
        .size:           2
        .value_kind:     hidden_group_size_z
      - .offset:         42
        .size:           2
        .value_kind:     hidden_remainder_x
      - .offset:         44
        .size:           2
        .value_kind:     hidden_remainder_y
      - .offset:         46
        .size:           2
        .value_kind:     hidden_remainder_z
      - .offset:         64
        .size:           8
        .value_kind:     hidden_global_offset_x
      - .offset:         72
        .size:           8
        .value_kind:     hidden_global_offset_y
      - .offset:         80
        .size:           8
        .value_kind:     hidden_global_offset_z
      - .offset:         88
        .size:           2
        .value_kind:     hidden_grid_dims
    .group_segment_fixed_size: 264
    .kernarg_segment_align: 8
    .kernarg_segment_size: 280
    .language:       OpenCL C
    .language_version:
      - 2
      - 0
    .max_flat_workgroup_size: 256
    .name:           _Z6kernelI14inclusive_scanILN6hipcub18BlockScanAlgorithmE1EEhLj256ELj3ELj100EEvPKT0_PS4_S4_
    .private_segment_fixed_size: 0
    .sgpr_count:     17
    .sgpr_spill_count: 0
    .symbol:         _Z6kernelI14inclusive_scanILN6hipcub18BlockScanAlgorithmE1EEhLj256ELj3ELj100EEvPKT0_PS4_S4_.kd
    .uniform_work_group_size: 1
    .uses_dynamic_stack: false
    .vgpr_count:     23
    .vgpr_spill_count: 0
    .wavefront_size: 64
  - .agpr_count:     0
    .args:
      - .address_space:  global
        .offset:         0
        .size:           8
        .value_kind:     global_buffer
      - .address_space:  global
        .offset:         8
        .size:           8
        .value_kind:     global_buffer
      - .offset:         16
        .size:           1
        .value_kind:     by_value
      - .offset:         24
        .size:           4
        .value_kind:     hidden_block_count_x
      - .offset:         28
        .size:           4
        .value_kind:     hidden_block_count_y
      - .offset:         32
        .size:           4
        .value_kind:     hidden_block_count_z
      - .offset:         36
        .size:           2
        .value_kind:     hidden_group_size_x
      - .offset:         38
        .size:           2
        .value_kind:     hidden_group_size_y
      - .offset:         40
        .size:           2
        .value_kind:     hidden_group_size_z
      - .offset:         42
        .size:           2
        .value_kind:     hidden_remainder_x
      - .offset:         44
        .size:           2
        .value_kind:     hidden_remainder_y
      - .offset:         46
        .size:           2
        .value_kind:     hidden_remainder_z
      - .offset:         64
        .size:           8
        .value_kind:     hidden_global_offset_x
      - .offset:         72
        .size:           8
        .value_kind:     hidden_global_offset_y
      - .offset:         80
        .size:           8
        .value_kind:     hidden_global_offset_z
      - .offset:         88
        .size:           2
        .value_kind:     hidden_grid_dims
    .group_segment_fixed_size: 264
    .kernarg_segment_align: 8
    .kernarg_segment_size: 280
    .language:       OpenCL C
    .language_version:
      - 2
      - 0
    .max_flat_workgroup_size: 256
    .name:           _Z6kernelI14inclusive_scanILN6hipcub18BlockScanAlgorithmE1EEhLj256ELj4ELj100EEvPKT0_PS4_S4_
    .private_segment_fixed_size: 0
    .sgpr_count:     17
    .sgpr_spill_count: 0
    .symbol:         _Z6kernelI14inclusive_scanILN6hipcub18BlockScanAlgorithmE1EEhLj256ELj4ELj100EEvPKT0_PS4_S4_.kd
    .uniform_work_group_size: 1
    .uses_dynamic_stack: false
    .vgpr_count:     19
    .vgpr_spill_count: 0
    .wavefront_size: 64
  - .agpr_count:     0
    .args:
      - .address_space:  global
        .offset:         0
        .size:           8
        .value_kind:     global_buffer
      - .address_space:  global
        .offset:         8
        .size:           8
        .value_kind:     global_buffer
      - .offset:         16
        .size:           1
        .value_kind:     by_value
      - .offset:         24
        .size:           4
        .value_kind:     hidden_block_count_x
      - .offset:         28
        .size:           4
        .value_kind:     hidden_block_count_y
      - .offset:         32
        .size:           4
        .value_kind:     hidden_block_count_z
      - .offset:         36
        .size:           2
        .value_kind:     hidden_group_size_x
      - .offset:         38
        .size:           2
        .value_kind:     hidden_group_size_y
      - .offset:         40
        .size:           2
        .value_kind:     hidden_group_size_z
      - .offset:         42
        .size:           2
        .value_kind:     hidden_remainder_x
      - .offset:         44
        .size:           2
        .value_kind:     hidden_remainder_y
      - .offset:         46
        .size:           2
        .value_kind:     hidden_remainder_z
      - .offset:         64
        .size:           8
        .value_kind:     hidden_global_offset_x
      - .offset:         72
        .size:           8
        .value_kind:     hidden_global_offset_y
      - .offset:         80
        .size:           8
        .value_kind:     hidden_global_offset_z
      - .offset:         88
        .size:           2
        .value_kind:     hidden_grid_dims
    .group_segment_fixed_size: 264
    .kernarg_segment_align: 8
    .kernarg_segment_size: 280
    .language:       OpenCL C
    .language_version:
      - 2
      - 0
    .max_flat_workgroup_size: 256
    .name:           _Z6kernelI14inclusive_scanILN6hipcub18BlockScanAlgorithmE1EEhLj256ELj8ELj100EEvPKT0_PS4_S4_
    .private_segment_fixed_size: 0
    .sgpr_count:     17
    .sgpr_spill_count: 0
    .symbol:         _Z6kernelI14inclusive_scanILN6hipcub18BlockScanAlgorithmE1EEhLj256ELj8ELj100EEvPKT0_PS4_S4_.kd
    .uniform_work_group_size: 1
    .uses_dynamic_stack: false
    .vgpr_count:     21
    .vgpr_spill_count: 0
    .wavefront_size: 64
  - .agpr_count:     0
    .args:
      - .address_space:  global
        .offset:         0
        .size:           8
        .value_kind:     global_buffer
      - .address_space:  global
        .offset:         8
        .size:           8
        .value_kind:     global_buffer
      - .offset:         16
        .size:           1
        .value_kind:     by_value
      - .offset:         24
        .size:           4
        .value_kind:     hidden_block_count_x
      - .offset:         28
        .size:           4
        .value_kind:     hidden_block_count_y
      - .offset:         32
        .size:           4
        .value_kind:     hidden_block_count_z
      - .offset:         36
        .size:           2
        .value_kind:     hidden_group_size_x
      - .offset:         38
        .size:           2
        .value_kind:     hidden_group_size_y
      - .offset:         40
        .size:           2
        .value_kind:     hidden_group_size_z
      - .offset:         42
        .size:           2
        .value_kind:     hidden_remainder_x
      - .offset:         44
        .size:           2
        .value_kind:     hidden_remainder_y
      - .offset:         46
        .size:           2
        .value_kind:     hidden_remainder_z
      - .offset:         64
        .size:           8
        .value_kind:     hidden_global_offset_x
      - .offset:         72
        .size:           8
        .value_kind:     hidden_global_offset_y
      - .offset:         80
        .size:           8
        .value_kind:     hidden_global_offset_z
      - .offset:         88
        .size:           2
        .value_kind:     hidden_grid_dims
    .group_segment_fixed_size: 264
    .kernarg_segment_align: 8
    .kernarg_segment_size: 280
    .language:       OpenCL C
    .language_version:
      - 2
      - 0
    .max_flat_workgroup_size: 256
    .name:           _Z6kernelI14inclusive_scanILN6hipcub18BlockScanAlgorithmE1EEhLj256ELj11ELj100EEvPKT0_PS4_S4_
    .private_segment_fixed_size: 0
    .sgpr_count:     17
    .sgpr_spill_count: 0
    .symbol:         _Z6kernelI14inclusive_scanILN6hipcub18BlockScanAlgorithmE1EEhLj256ELj11ELj100EEvPKT0_PS4_S4_.kd
    .uniform_work_group_size: 1
    .uses_dynamic_stack: false
    .vgpr_count:     43
    .vgpr_spill_count: 0
    .wavefront_size: 64
  - .agpr_count:     0
    .args:
      - .address_space:  global
        .offset:         0
        .size:           8
        .value_kind:     global_buffer
      - .address_space:  global
        .offset:         8
        .size:           8
        .value_kind:     global_buffer
      - .offset:         16
        .size:           1
        .value_kind:     by_value
      - .offset:         24
        .size:           4
        .value_kind:     hidden_block_count_x
      - .offset:         28
        .size:           4
        .value_kind:     hidden_block_count_y
      - .offset:         32
        .size:           4
        .value_kind:     hidden_block_count_z
      - .offset:         36
        .size:           2
        .value_kind:     hidden_group_size_x
      - .offset:         38
        .size:           2
        .value_kind:     hidden_group_size_y
      - .offset:         40
        .size:           2
        .value_kind:     hidden_group_size_z
      - .offset:         42
        .size:           2
        .value_kind:     hidden_remainder_x
      - .offset:         44
        .size:           2
        .value_kind:     hidden_remainder_y
      - .offset:         46
        .size:           2
        .value_kind:     hidden_remainder_z
      - .offset:         64
        .size:           8
        .value_kind:     hidden_global_offset_x
      - .offset:         72
        .size:           8
        .value_kind:     hidden_global_offset_y
      - .offset:         80
        .size:           8
        .value_kind:     hidden_global_offset_z
      - .offset:         88
        .size:           2
        .value_kind:     hidden_grid_dims
    .group_segment_fixed_size: 264
    .kernarg_segment_align: 8
    .kernarg_segment_size: 280
    .language:       OpenCL C
    .language_version:
      - 2
      - 0
    .max_flat_workgroup_size: 256
    .name:           _Z6kernelI14inclusive_scanILN6hipcub18BlockScanAlgorithmE1EEhLj256ELj16ELj100EEvPKT0_PS4_S4_
    .private_segment_fixed_size: 0
    .sgpr_count:     17
    .sgpr_spill_count: 0
    .symbol:         _Z6kernelI14inclusive_scanILN6hipcub18BlockScanAlgorithmE1EEhLj256ELj16ELj100EEvPKT0_PS4_S4_.kd
    .uniform_work_group_size: 1
    .uses_dynamic_stack: false
    .vgpr_count:     29
    .vgpr_spill_count: 0
    .wavefront_size: 64
  - .agpr_count:     0
    .args:
      - .address_space:  global
        .offset:         0
        .size:           8
        .value_kind:     global_buffer
      - .address_space:  global
        .offset:         8
        .size:           8
        .value_kind:     global_buffer
      - .offset:         16
        .size:           8
        .value_kind:     by_value
      - .offset:         24
        .size:           4
        .value_kind:     hidden_block_count_x
      - .offset:         28
        .size:           4
        .value_kind:     hidden_block_count_y
      - .offset:         32
        .size:           4
        .value_kind:     hidden_block_count_z
      - .offset:         36
        .size:           2
        .value_kind:     hidden_group_size_x
      - .offset:         38
        .size:           2
        .value_kind:     hidden_group_size_y
      - .offset:         40
        .size:           2
        .value_kind:     hidden_group_size_z
      - .offset:         42
        .size:           2
        .value_kind:     hidden_remainder_x
      - .offset:         44
        .size:           2
        .value_kind:     hidden_remainder_y
      - .offset:         46
        .size:           2
        .value_kind:     hidden_remainder_z
      - .offset:         64
        .size:           8
        .value_kind:     hidden_global_offset_x
      - .offset:         72
        .size:           8
        .value_kind:     hidden_global_offset_y
      - .offset:         80
        .size:           8
        .value_kind:     hidden_global_offset_z
      - .offset:         88
        .size:           2
        .value_kind:     hidden_grid_dims
    .group_segment_fixed_size: 2112
    .kernarg_segment_align: 8
    .kernarg_segment_size: 280
    .language:       OpenCL C
    .language_version:
      - 2
      - 0
    .max_flat_workgroup_size: 256
    .name:           _Z6kernelI14inclusive_scanILN6hipcub18BlockScanAlgorithmE1EEN15benchmark_utils11custom_typeIffEELj256ELj1ELj100EEvPKT0_PS7_S7_
    .private_segment_fixed_size: 0
    .sgpr_count:     15
    .sgpr_spill_count: 0
    .symbol:         _Z6kernelI14inclusive_scanILN6hipcub18BlockScanAlgorithmE1EEN15benchmark_utils11custom_typeIffEELj256ELj1ELj100EEvPKT0_PS7_S7_.kd
    .uniform_work_group_size: 1
    .uses_dynamic_stack: false
    .vgpr_count:     24
    .vgpr_spill_count: 0
    .wavefront_size: 64
  - .agpr_count:     0
    .args:
      - .address_space:  global
        .offset:         0
        .size:           8
        .value_kind:     global_buffer
      - .address_space:  global
        .offset:         8
        .size:           8
        .value_kind:     global_buffer
      - .offset:         16
        .size:           8
        .value_kind:     by_value
      - .offset:         24
        .size:           4
        .value_kind:     hidden_block_count_x
      - .offset:         28
        .size:           4
        .value_kind:     hidden_block_count_y
      - .offset:         32
        .size:           4
        .value_kind:     hidden_block_count_z
      - .offset:         36
        .size:           2
        .value_kind:     hidden_group_size_x
      - .offset:         38
        .size:           2
        .value_kind:     hidden_group_size_y
      - .offset:         40
        .size:           2
        .value_kind:     hidden_group_size_z
      - .offset:         42
        .size:           2
        .value_kind:     hidden_remainder_x
      - .offset:         44
        .size:           2
        .value_kind:     hidden_remainder_y
      - .offset:         46
        .size:           2
        .value_kind:     hidden_remainder_z
      - .offset:         64
        .size:           8
        .value_kind:     hidden_global_offset_x
      - .offset:         72
        .size:           8
        .value_kind:     hidden_global_offset_y
      - .offset:         80
        .size:           8
        .value_kind:     hidden_global_offset_z
      - .offset:         88
        .size:           2
        .value_kind:     hidden_grid_dims
    .group_segment_fixed_size: 2112
    .kernarg_segment_align: 8
    .kernarg_segment_size: 280
    .language:       OpenCL C
    .language_version:
      - 2
      - 0
    .max_flat_workgroup_size: 256
    .name:           _Z6kernelI14inclusive_scanILN6hipcub18BlockScanAlgorithmE1EEN15benchmark_utils11custom_typeIffEELj256ELj4ELj100EEvPKT0_PS7_S7_
    .private_segment_fixed_size: 0
    .sgpr_count:     17
    .sgpr_spill_count: 0
    .symbol:         _Z6kernelI14inclusive_scanILN6hipcub18BlockScanAlgorithmE1EEN15benchmark_utils11custom_typeIffEELj256ELj4ELj100EEvPKT0_PS7_S7_.kd
    .uniform_work_group_size: 1
    .uses_dynamic_stack: false
    .vgpr_count:     36
    .vgpr_spill_count: 0
    .wavefront_size: 64
  - .agpr_count:     0
    .args:
      - .address_space:  global
        .offset:         0
        .size:           8
        .value_kind:     global_buffer
      - .address_space:  global
        .offset:         8
        .size:           8
        .value_kind:     global_buffer
      - .offset:         16
        .size:           8
        .value_kind:     by_value
      - .offset:         24
        .size:           4
        .value_kind:     hidden_block_count_x
      - .offset:         28
        .size:           4
        .value_kind:     hidden_block_count_y
      - .offset:         32
        .size:           4
        .value_kind:     hidden_block_count_z
      - .offset:         36
        .size:           2
        .value_kind:     hidden_group_size_x
      - .offset:         38
        .size:           2
        .value_kind:     hidden_group_size_y
      - .offset:         40
        .size:           2
        .value_kind:     hidden_group_size_z
      - .offset:         42
        .size:           2
        .value_kind:     hidden_remainder_x
      - .offset:         44
        .size:           2
        .value_kind:     hidden_remainder_y
      - .offset:         46
        .size:           2
        .value_kind:     hidden_remainder_z
      - .offset:         64
        .size:           8
        .value_kind:     hidden_global_offset_x
      - .offset:         72
        .size:           8
        .value_kind:     hidden_global_offset_y
      - .offset:         80
        .size:           8
        .value_kind:     hidden_global_offset_z
      - .offset:         88
        .size:           2
        .value_kind:     hidden_grid_dims
    .group_segment_fixed_size: 2112
    .kernarg_segment_align: 8
    .kernarg_segment_size: 280
    .language:       OpenCL C
    .language_version:
      - 2
      - 0
    .max_flat_workgroup_size: 256
    .name:           _Z6kernelI14inclusive_scanILN6hipcub18BlockScanAlgorithmE1EEN15benchmark_utils11custom_typeIffEELj256ELj8ELj100EEvPKT0_PS7_S7_
    .private_segment_fixed_size: 0
    .sgpr_count:     17
    .sgpr_spill_count: 0
    .symbol:         _Z6kernelI14inclusive_scanILN6hipcub18BlockScanAlgorithmE1EEN15benchmark_utils11custom_typeIffEELj256ELj8ELj100EEvPKT0_PS7_S7_.kd
    .uniform_work_group_size: 1
    .uses_dynamic_stack: false
    .vgpr_count:     49
    .vgpr_spill_count: 0
    .wavefront_size: 64
  - .agpr_count:     0
    .args:
      - .address_space:  global
        .offset:         0
        .size:           8
        .value_kind:     global_buffer
      - .address_space:  global
        .offset:         8
        .size:           8
        .value_kind:     global_buffer
      - .offset:         16
        .size:           16
        .value_kind:     by_value
      - .offset:         32
        .size:           4
        .value_kind:     hidden_block_count_x
      - .offset:         36
        .size:           4
        .value_kind:     hidden_block_count_y
      - .offset:         40
        .size:           4
        .value_kind:     hidden_block_count_z
      - .offset:         44
        .size:           2
        .value_kind:     hidden_group_size_x
      - .offset:         46
        .size:           2
        .value_kind:     hidden_group_size_y
      - .offset:         48
        .size:           2
        .value_kind:     hidden_group_size_z
      - .offset:         50
        .size:           2
        .value_kind:     hidden_remainder_x
      - .offset:         52
        .size:           2
        .value_kind:     hidden_remainder_y
      - .offset:         54
        .size:           2
        .value_kind:     hidden_remainder_z
      - .offset:         72
        .size:           8
        .value_kind:     hidden_global_offset_x
      - .offset:         80
        .size:           8
        .value_kind:     hidden_global_offset_y
      - .offset:         88
        .size:           8
        .value_kind:     hidden_global_offset_z
      - .offset:         96
        .size:           2
        .value_kind:     hidden_grid_dims
    .group_segment_fixed_size: 4224
    .kernarg_segment_align: 8
    .kernarg_segment_size: 288
    .language:       OpenCL C
    .language_version:
      - 2
      - 0
    .max_flat_workgroup_size: 256
    .name:           _Z6kernelI14inclusive_scanILN6hipcub18BlockScanAlgorithmE1EEN15benchmark_utils11custom_typeIddEELj256ELj1ELj100EEvPKT0_PS7_S7_
    .private_segment_fixed_size: 0
    .sgpr_count:     17
    .sgpr_spill_count: 0
    .symbol:         _Z6kernelI14inclusive_scanILN6hipcub18BlockScanAlgorithmE1EEN15benchmark_utils11custom_typeIddEELj256ELj1ELj100EEvPKT0_PS7_S7_.kd
    .uniform_work_group_size: 1
    .uses_dynamic_stack: false
    .vgpr_count:     35
    .vgpr_spill_count: 0
    .wavefront_size: 64
  - .agpr_count:     0
    .args:
      - .address_space:  global
        .offset:         0
        .size:           8
        .value_kind:     global_buffer
      - .address_space:  global
        .offset:         8
        .size:           8
        .value_kind:     global_buffer
      - .offset:         16
        .size:           16
        .value_kind:     by_value
      - .offset:         32
        .size:           4
        .value_kind:     hidden_block_count_x
      - .offset:         36
        .size:           4
        .value_kind:     hidden_block_count_y
      - .offset:         40
        .size:           4
        .value_kind:     hidden_block_count_z
      - .offset:         44
        .size:           2
        .value_kind:     hidden_group_size_x
      - .offset:         46
        .size:           2
        .value_kind:     hidden_group_size_y
      - .offset:         48
        .size:           2
        .value_kind:     hidden_group_size_z
      - .offset:         50
        .size:           2
        .value_kind:     hidden_remainder_x
      - .offset:         52
        .size:           2
        .value_kind:     hidden_remainder_y
      - .offset:         54
        .size:           2
        .value_kind:     hidden_remainder_z
      - .offset:         72
        .size:           8
        .value_kind:     hidden_global_offset_x
      - .offset:         80
        .size:           8
        .value_kind:     hidden_global_offset_y
      - .offset:         88
        .size:           8
        .value_kind:     hidden_global_offset_z
      - .offset:         96
        .size:           2
        .value_kind:     hidden_grid_dims
    .group_segment_fixed_size: 4224
    .kernarg_segment_align: 8
    .kernarg_segment_size: 288
    .language:       OpenCL C
    .language_version:
      - 2
      - 0
    .max_flat_workgroup_size: 256
    .name:           _Z6kernelI14inclusive_scanILN6hipcub18BlockScanAlgorithmE1EEN15benchmark_utils11custom_typeIddEELj256ELj4ELj100EEvPKT0_PS7_S7_
    .private_segment_fixed_size: 0
    .sgpr_count:     19
    .sgpr_spill_count: 0
    .symbol:         _Z6kernelI14inclusive_scanILN6hipcub18BlockScanAlgorithmE1EEN15benchmark_utils11custom_typeIddEELj256ELj4ELj100EEvPKT0_PS7_S7_.kd
    .uniform_work_group_size: 1
    .uses_dynamic_stack: false
    .vgpr_count:     59
    .vgpr_spill_count: 0
    .wavefront_size: 64
  - .agpr_count:     0
    .args:
      - .address_space:  global
        .offset:         0
        .size:           8
        .value_kind:     global_buffer
      - .address_space:  global
        .offset:         8
        .size:           8
        .value_kind:     global_buffer
      - .offset:         16
        .size:           16
        .value_kind:     by_value
      - .offset:         32
        .size:           4
        .value_kind:     hidden_block_count_x
      - .offset:         36
        .size:           4
        .value_kind:     hidden_block_count_y
      - .offset:         40
        .size:           4
        .value_kind:     hidden_block_count_z
      - .offset:         44
        .size:           2
        .value_kind:     hidden_group_size_x
      - .offset:         46
        .size:           2
        .value_kind:     hidden_group_size_y
      - .offset:         48
        .size:           2
        .value_kind:     hidden_group_size_z
      - .offset:         50
        .size:           2
        .value_kind:     hidden_remainder_x
      - .offset:         52
        .size:           2
        .value_kind:     hidden_remainder_y
      - .offset:         54
        .size:           2
        .value_kind:     hidden_remainder_z
      - .offset:         72
        .size:           8
        .value_kind:     hidden_global_offset_x
      - .offset:         80
        .size:           8
        .value_kind:     hidden_global_offset_y
      - .offset:         88
        .size:           8
        .value_kind:     hidden_global_offset_z
      - .offset:         96
        .size:           2
        .value_kind:     hidden_grid_dims
    .group_segment_fixed_size: 4224
    .kernarg_segment_align: 8
    .kernarg_segment_size: 288
    .language:       OpenCL C
    .language_version:
      - 2
      - 0
    .max_flat_workgroup_size: 256
    .name:           _Z6kernelI14inclusive_scanILN6hipcub18BlockScanAlgorithmE1EEN15benchmark_utils11custom_typeIddEELj256ELj8ELj100EEvPKT0_PS7_S7_
    .private_segment_fixed_size: 0
    .sgpr_count:     19
    .sgpr_spill_count: 0
    .symbol:         _Z6kernelI14inclusive_scanILN6hipcub18BlockScanAlgorithmE1EEN15benchmark_utils11custom_typeIddEELj256ELj8ELj100EEvPKT0_PS7_S7_.kd
    .uniform_work_group_size: 1
    .uses_dynamic_stack: false
    .vgpr_count:     91
    .vgpr_spill_count: 0
    .wavefront_size: 64
  - .agpr_count:     0
    .args:
      - .address_space:  global
        .offset:         0
        .size:           8
        .value_kind:     global_buffer
      - .address_space:  global
        .offset:         8
        .size:           8
        .value_kind:     global_buffer
      - .offset:         16
        .size:           4
        .value_kind:     by_value
      - .offset:         24
        .size:           4
        .value_kind:     hidden_block_count_x
      - .offset:         28
        .size:           4
        .value_kind:     hidden_block_count_y
      - .offset:         32
        .size:           4
        .value_kind:     hidden_block_count_z
      - .offset:         36
        .size:           2
        .value_kind:     hidden_group_size_x
      - .offset:         38
        .size:           2
        .value_kind:     hidden_group_size_y
      - .offset:         40
        .size:           2
        .value_kind:     hidden_group_size_z
      - .offset:         42
        .size:           2
        .value_kind:     hidden_remainder_x
      - .offset:         44
        .size:           2
        .value_kind:     hidden_remainder_y
      - .offset:         46
        .size:           2
        .value_kind:     hidden_remainder_z
      - .offset:         64
        .size:           8
        .value_kind:     hidden_global_offset_x
      - .offset:         72
        .size:           8
        .value_kind:     hidden_global_offset_y
      - .offset:         80
        .size:           8
        .value_kind:     hidden_global_offset_z
      - .offset:         88
        .size:           2
        .value_kind:     hidden_grid_dims
    .group_segment_fixed_size: 4
    .kernarg_segment_align: 8
    .kernarg_segment_size: 280
    .language:       OpenCL C
    .language_version:
      - 2
      - 0
    .max_flat_workgroup_size: 64
    .name:           _Z6kernelI14inclusive_scanILN6hipcub18BlockScanAlgorithmE0EEiLj64ELj1ELj100EEvPKT0_PS4_S4_
    .private_segment_fixed_size: 0
    .sgpr_count:     23
    .sgpr_spill_count: 0
    .symbol:         _Z6kernelI14inclusive_scanILN6hipcub18BlockScanAlgorithmE0EEiLj64ELj1ELj100EEvPKT0_PS4_S4_.kd
    .uniform_work_group_size: 1
    .uses_dynamic_stack: false
    .vgpr_count:     6
    .vgpr_spill_count: 0
    .wavefront_size: 64
  - .agpr_count:     0
    .args:
      - .address_space:  global
        .offset:         0
        .size:           8
        .value_kind:     global_buffer
      - .address_space:  global
        .offset:         8
        .size:           8
        .value_kind:     global_buffer
      - .offset:         16
        .size:           4
        .value_kind:     by_value
      - .offset:         24
        .size:           4
        .value_kind:     hidden_block_count_x
      - .offset:         28
        .size:           4
        .value_kind:     hidden_block_count_y
      - .offset:         32
        .size:           4
        .value_kind:     hidden_block_count_z
      - .offset:         36
        .size:           2
        .value_kind:     hidden_group_size_x
      - .offset:         38
        .size:           2
        .value_kind:     hidden_group_size_y
      - .offset:         40
        .size:           2
        .value_kind:     hidden_group_size_z
      - .offset:         42
        .size:           2
        .value_kind:     hidden_remainder_x
      - .offset:         44
        .size:           2
        .value_kind:     hidden_remainder_y
      - .offset:         46
        .size:           2
        .value_kind:     hidden_remainder_z
      - .offset:         64
        .size:           8
        .value_kind:     hidden_global_offset_x
      - .offset:         72
        .size:           8
        .value_kind:     hidden_global_offset_y
      - .offset:         80
        .size:           8
        .value_kind:     hidden_global_offset_z
      - .offset:         88
        .size:           2
        .value_kind:     hidden_grid_dims
    .group_segment_fixed_size: 4
    .kernarg_segment_align: 8
    .kernarg_segment_size: 280
    .language:       OpenCL C
    .language_version:
      - 2
      - 0
    .max_flat_workgroup_size: 64
    .name:           _Z6kernelI14inclusive_scanILN6hipcub18BlockScanAlgorithmE0EEiLj64ELj3ELj100EEvPKT0_PS4_S4_
    .private_segment_fixed_size: 0
    .sgpr_count:     25
    .sgpr_spill_count: 0
    .symbol:         _Z6kernelI14inclusive_scanILN6hipcub18BlockScanAlgorithmE0EEiLj64ELj3ELj100EEvPKT0_PS4_S4_.kd
    .uniform_work_group_size: 1
    .uses_dynamic_stack: false
    .vgpr_count:     16
    .vgpr_spill_count: 0
    .wavefront_size: 64
  - .agpr_count:     0
    .args:
      - .address_space:  global
        .offset:         0
        .size:           8
        .value_kind:     global_buffer
      - .address_space:  global
        .offset:         8
        .size:           8
        .value_kind:     global_buffer
      - .offset:         16
        .size:           4
        .value_kind:     by_value
      - .offset:         24
        .size:           4
        .value_kind:     hidden_block_count_x
      - .offset:         28
        .size:           4
        .value_kind:     hidden_block_count_y
      - .offset:         32
        .size:           4
        .value_kind:     hidden_block_count_z
      - .offset:         36
        .size:           2
        .value_kind:     hidden_group_size_x
      - .offset:         38
        .size:           2
        .value_kind:     hidden_group_size_y
      - .offset:         40
        .size:           2
        .value_kind:     hidden_group_size_z
      - .offset:         42
        .size:           2
        .value_kind:     hidden_remainder_x
      - .offset:         44
        .size:           2
        .value_kind:     hidden_remainder_y
      - .offset:         46
        .size:           2
        .value_kind:     hidden_remainder_z
      - .offset:         64
        .size:           8
        .value_kind:     hidden_global_offset_x
      - .offset:         72
        .size:           8
        .value_kind:     hidden_global_offset_y
      - .offset:         80
        .size:           8
        .value_kind:     hidden_global_offset_z
      - .offset:         88
        .size:           2
        .value_kind:     hidden_grid_dims
    .group_segment_fixed_size: 4
    .kernarg_segment_align: 8
    .kernarg_segment_size: 280
    .language:       OpenCL C
    .language_version:
      - 2
      - 0
    .max_flat_workgroup_size: 64
    .name:           _Z6kernelI14inclusive_scanILN6hipcub18BlockScanAlgorithmE0EEiLj64ELj4ELj100EEvPKT0_PS4_S4_
    .private_segment_fixed_size: 0
    .sgpr_count:     25
    .sgpr_spill_count: 0
    .symbol:         _Z6kernelI14inclusive_scanILN6hipcub18BlockScanAlgorithmE0EEiLj64ELj4ELj100EEvPKT0_PS4_S4_.kd
    .uniform_work_group_size: 1
    .uses_dynamic_stack: false
    .vgpr_count:     10
    .vgpr_spill_count: 0
    .wavefront_size: 64
  - .agpr_count:     0
    .args:
      - .address_space:  global
        .offset:         0
        .size:           8
        .value_kind:     global_buffer
      - .address_space:  global
        .offset:         8
        .size:           8
        .value_kind:     global_buffer
      - .offset:         16
        .size:           4
        .value_kind:     by_value
      - .offset:         24
        .size:           4
        .value_kind:     hidden_block_count_x
      - .offset:         28
        .size:           4
        .value_kind:     hidden_block_count_y
      - .offset:         32
        .size:           4
        .value_kind:     hidden_block_count_z
      - .offset:         36
        .size:           2
        .value_kind:     hidden_group_size_x
      - .offset:         38
        .size:           2
        .value_kind:     hidden_group_size_y
      - .offset:         40
        .size:           2
        .value_kind:     hidden_group_size_z
      - .offset:         42
        .size:           2
        .value_kind:     hidden_remainder_x
      - .offset:         44
        .size:           2
        .value_kind:     hidden_remainder_y
      - .offset:         46
        .size:           2
        .value_kind:     hidden_remainder_z
      - .offset:         64
        .size:           8
        .value_kind:     hidden_global_offset_x
      - .offset:         72
        .size:           8
        .value_kind:     hidden_global_offset_y
      - .offset:         80
        .size:           8
        .value_kind:     hidden_global_offset_z
      - .offset:         88
        .size:           2
        .value_kind:     hidden_grid_dims
    .group_segment_fixed_size: 4
    .kernarg_segment_align: 8
    .kernarg_segment_size: 280
    .language:       OpenCL C
    .language_version:
      - 2
      - 0
    .max_flat_workgroup_size: 64
    .name:           _Z6kernelI14inclusive_scanILN6hipcub18BlockScanAlgorithmE0EEiLj64ELj8ELj100EEvPKT0_PS4_S4_
    .private_segment_fixed_size: 0
    .sgpr_count:     25
    .sgpr_spill_count: 0
    .symbol:         _Z6kernelI14inclusive_scanILN6hipcub18BlockScanAlgorithmE0EEiLj64ELj8ELj100EEvPKT0_PS4_S4_.kd
    .uniform_work_group_size: 1
    .uses_dynamic_stack: false
    .vgpr_count:     14
    .vgpr_spill_count: 0
    .wavefront_size: 64
  - .agpr_count:     0
    .args:
      - .address_space:  global
        .offset:         0
        .size:           8
        .value_kind:     global_buffer
      - .address_space:  global
        .offset:         8
        .size:           8
        .value_kind:     global_buffer
      - .offset:         16
        .size:           4
        .value_kind:     by_value
      - .offset:         24
        .size:           4
        .value_kind:     hidden_block_count_x
      - .offset:         28
        .size:           4
        .value_kind:     hidden_block_count_y
      - .offset:         32
        .size:           4
        .value_kind:     hidden_block_count_z
      - .offset:         36
        .size:           2
        .value_kind:     hidden_group_size_x
      - .offset:         38
        .size:           2
        .value_kind:     hidden_group_size_y
      - .offset:         40
        .size:           2
        .value_kind:     hidden_group_size_z
      - .offset:         42
        .size:           2
        .value_kind:     hidden_remainder_x
      - .offset:         44
        .size:           2
        .value_kind:     hidden_remainder_y
      - .offset:         46
        .size:           2
        .value_kind:     hidden_remainder_z
      - .offset:         64
        .size:           8
        .value_kind:     hidden_global_offset_x
      - .offset:         72
        .size:           8
        .value_kind:     hidden_global_offset_y
      - .offset:         80
        .size:           8
        .value_kind:     hidden_global_offset_z
      - .offset:         88
        .size:           2
        .value_kind:     hidden_grid_dims
    .group_segment_fixed_size: 4
    .kernarg_segment_align: 8
    .kernarg_segment_size: 280
    .language:       OpenCL C
    .language_version:
      - 2
      - 0
    .max_flat_workgroup_size: 64
    .name:           _Z6kernelI14inclusive_scanILN6hipcub18BlockScanAlgorithmE0EEiLj64ELj11ELj100EEvPKT0_PS4_S4_
    .private_segment_fixed_size: 0
    .sgpr_count:     25
    .sgpr_spill_count: 0
    .symbol:         _Z6kernelI14inclusive_scanILN6hipcub18BlockScanAlgorithmE0EEiLj64ELj11ELj100EEvPKT0_PS4_S4_.kd
    .uniform_work_group_size: 1
    .uses_dynamic_stack: false
    .vgpr_count:     42
    .vgpr_spill_count: 0
    .wavefront_size: 64
  - .agpr_count:     0
    .args:
      - .address_space:  global
        .offset:         0
        .size:           8
        .value_kind:     global_buffer
      - .address_space:  global
        .offset:         8
        .size:           8
        .value_kind:     global_buffer
      - .offset:         16
        .size:           4
        .value_kind:     by_value
      - .offset:         24
        .size:           4
        .value_kind:     hidden_block_count_x
      - .offset:         28
        .size:           4
        .value_kind:     hidden_block_count_y
      - .offset:         32
        .size:           4
        .value_kind:     hidden_block_count_z
      - .offset:         36
        .size:           2
        .value_kind:     hidden_group_size_x
      - .offset:         38
        .size:           2
        .value_kind:     hidden_group_size_y
      - .offset:         40
        .size:           2
        .value_kind:     hidden_group_size_z
      - .offset:         42
        .size:           2
        .value_kind:     hidden_remainder_x
      - .offset:         44
        .size:           2
        .value_kind:     hidden_remainder_y
      - .offset:         46
        .size:           2
        .value_kind:     hidden_remainder_z
      - .offset:         64
        .size:           8
        .value_kind:     hidden_global_offset_x
      - .offset:         72
        .size:           8
        .value_kind:     hidden_global_offset_y
      - .offset:         80
        .size:           8
        .value_kind:     hidden_global_offset_z
      - .offset:         88
        .size:           2
        .value_kind:     hidden_grid_dims
    .group_segment_fixed_size: 4
    .kernarg_segment_align: 8
    .kernarg_segment_size: 280
    .language:       OpenCL C
    .language_version:
      - 2
      - 0
    .max_flat_workgroup_size: 64
    .name:           _Z6kernelI14inclusive_scanILN6hipcub18BlockScanAlgorithmE0EEiLj64ELj16ELj100EEvPKT0_PS4_S4_
    .private_segment_fixed_size: 0
    .sgpr_count:     25
    .sgpr_spill_count: 0
    .symbol:         _Z6kernelI14inclusive_scanILN6hipcub18BlockScanAlgorithmE0EEiLj64ELj16ELj100EEvPKT0_PS4_S4_.kd
    .uniform_work_group_size: 1
    .uses_dynamic_stack: false
    .vgpr_count:     22
    .vgpr_spill_count: 0
    .wavefront_size: 64
  - .agpr_count:     0
    .args:
      - .address_space:  global
        .offset:         0
        .size:           8
        .value_kind:     global_buffer
      - .address_space:  global
        .offset:         8
        .size:           8
        .value_kind:     global_buffer
      - .offset:         16
        .size:           4
        .value_kind:     by_value
      - .offset:         24
        .size:           4
        .value_kind:     hidden_block_count_x
      - .offset:         28
        .size:           4
        .value_kind:     hidden_block_count_y
      - .offset:         32
        .size:           4
        .value_kind:     hidden_block_count_z
      - .offset:         36
        .size:           2
        .value_kind:     hidden_group_size_x
      - .offset:         38
        .size:           2
        .value_kind:     hidden_group_size_y
      - .offset:         40
        .size:           2
        .value_kind:     hidden_group_size_z
      - .offset:         42
        .size:           2
        .value_kind:     hidden_remainder_x
      - .offset:         44
        .size:           2
        .value_kind:     hidden_remainder_y
      - .offset:         46
        .size:           2
        .value_kind:     hidden_remainder_z
      - .offset:         64
        .size:           8
        .value_kind:     hidden_global_offset_x
      - .offset:         72
        .size:           8
        .value_kind:     hidden_global_offset_y
      - .offset:         80
        .size:           8
        .value_kind:     hidden_global_offset_z
      - .offset:         88
        .size:           2
        .value_kind:     hidden_grid_dims
    .group_segment_fixed_size: 4
    .kernarg_segment_align: 8
    .kernarg_segment_size: 280
    .language:       OpenCL C
    .language_version:
      - 2
      - 0
    .max_flat_workgroup_size: 64
    .name:           _Z6kernelI14inclusive_scanILN6hipcub18BlockScanAlgorithmE0EEfLj64ELj1ELj100EEvPKT0_PS4_S4_
    .private_segment_fixed_size: 0
    .sgpr_count:     23
    .sgpr_spill_count: 0
    .symbol:         _Z6kernelI14inclusive_scanILN6hipcub18BlockScanAlgorithmE0EEfLj64ELj1ELj100EEvPKT0_PS4_S4_.kd
    .uniform_work_group_size: 1
    .uses_dynamic_stack: false
    .vgpr_count:     6
    .vgpr_spill_count: 0
    .wavefront_size: 64
  - .agpr_count:     0
    .args:
      - .address_space:  global
        .offset:         0
        .size:           8
        .value_kind:     global_buffer
      - .address_space:  global
        .offset:         8
        .size:           8
        .value_kind:     global_buffer
      - .offset:         16
        .size:           4
        .value_kind:     by_value
      - .offset:         24
        .size:           4
        .value_kind:     hidden_block_count_x
      - .offset:         28
        .size:           4
        .value_kind:     hidden_block_count_y
      - .offset:         32
        .size:           4
        .value_kind:     hidden_block_count_z
      - .offset:         36
        .size:           2
        .value_kind:     hidden_group_size_x
      - .offset:         38
        .size:           2
        .value_kind:     hidden_group_size_y
      - .offset:         40
        .size:           2
        .value_kind:     hidden_group_size_z
      - .offset:         42
        .size:           2
        .value_kind:     hidden_remainder_x
      - .offset:         44
        .size:           2
        .value_kind:     hidden_remainder_y
      - .offset:         46
        .size:           2
        .value_kind:     hidden_remainder_z
      - .offset:         64
        .size:           8
        .value_kind:     hidden_global_offset_x
      - .offset:         72
        .size:           8
        .value_kind:     hidden_global_offset_y
      - .offset:         80
        .size:           8
        .value_kind:     hidden_global_offset_z
      - .offset:         88
        .size:           2
        .value_kind:     hidden_grid_dims
    .group_segment_fixed_size: 4
    .kernarg_segment_align: 8
    .kernarg_segment_size: 280
    .language:       OpenCL C
    .language_version:
      - 2
      - 0
    .max_flat_workgroup_size: 64
    .name:           _Z6kernelI14inclusive_scanILN6hipcub18BlockScanAlgorithmE0EEfLj64ELj3ELj100EEvPKT0_PS4_S4_
    .private_segment_fixed_size: 0
    .sgpr_count:     25
    .sgpr_spill_count: 0
    .symbol:         _Z6kernelI14inclusive_scanILN6hipcub18BlockScanAlgorithmE0EEfLj64ELj3ELj100EEvPKT0_PS4_S4_.kd
    .uniform_work_group_size: 1
    .uses_dynamic_stack: false
    .vgpr_count:     16
    .vgpr_spill_count: 0
    .wavefront_size: 64
  - .agpr_count:     0
    .args:
      - .address_space:  global
        .offset:         0
        .size:           8
        .value_kind:     global_buffer
      - .address_space:  global
        .offset:         8
        .size:           8
        .value_kind:     global_buffer
      - .offset:         16
        .size:           4
        .value_kind:     by_value
      - .offset:         24
        .size:           4
        .value_kind:     hidden_block_count_x
      - .offset:         28
        .size:           4
        .value_kind:     hidden_block_count_y
      - .offset:         32
        .size:           4
        .value_kind:     hidden_block_count_z
      - .offset:         36
        .size:           2
        .value_kind:     hidden_group_size_x
      - .offset:         38
        .size:           2
        .value_kind:     hidden_group_size_y
      - .offset:         40
        .size:           2
        .value_kind:     hidden_group_size_z
      - .offset:         42
        .size:           2
        .value_kind:     hidden_remainder_x
      - .offset:         44
        .size:           2
        .value_kind:     hidden_remainder_y
      - .offset:         46
        .size:           2
        .value_kind:     hidden_remainder_z
      - .offset:         64
        .size:           8
        .value_kind:     hidden_global_offset_x
      - .offset:         72
        .size:           8
        .value_kind:     hidden_global_offset_y
      - .offset:         80
        .size:           8
        .value_kind:     hidden_global_offset_z
      - .offset:         88
        .size:           2
        .value_kind:     hidden_grid_dims
    .group_segment_fixed_size: 4
    .kernarg_segment_align: 8
    .kernarg_segment_size: 280
    .language:       OpenCL C
    .language_version:
      - 2
      - 0
    .max_flat_workgroup_size: 64
    .name:           _Z6kernelI14inclusive_scanILN6hipcub18BlockScanAlgorithmE0EEfLj64ELj4ELj100EEvPKT0_PS4_S4_
    .private_segment_fixed_size: 0
    .sgpr_count:     25
    .sgpr_spill_count: 0
    .symbol:         _Z6kernelI14inclusive_scanILN6hipcub18BlockScanAlgorithmE0EEfLj64ELj4ELj100EEvPKT0_PS4_S4_.kd
    .uniform_work_group_size: 1
    .uses_dynamic_stack: false
    .vgpr_count:     10
    .vgpr_spill_count: 0
    .wavefront_size: 64
  - .agpr_count:     0
    .args:
      - .address_space:  global
        .offset:         0
        .size:           8
        .value_kind:     global_buffer
      - .address_space:  global
        .offset:         8
        .size:           8
        .value_kind:     global_buffer
      - .offset:         16
        .size:           4
        .value_kind:     by_value
      - .offset:         24
        .size:           4
        .value_kind:     hidden_block_count_x
      - .offset:         28
        .size:           4
        .value_kind:     hidden_block_count_y
      - .offset:         32
        .size:           4
        .value_kind:     hidden_block_count_z
      - .offset:         36
        .size:           2
        .value_kind:     hidden_group_size_x
      - .offset:         38
        .size:           2
        .value_kind:     hidden_group_size_y
      - .offset:         40
        .size:           2
        .value_kind:     hidden_group_size_z
      - .offset:         42
        .size:           2
        .value_kind:     hidden_remainder_x
      - .offset:         44
        .size:           2
        .value_kind:     hidden_remainder_y
      - .offset:         46
        .size:           2
        .value_kind:     hidden_remainder_z
      - .offset:         64
        .size:           8
        .value_kind:     hidden_global_offset_x
      - .offset:         72
        .size:           8
        .value_kind:     hidden_global_offset_y
      - .offset:         80
        .size:           8
        .value_kind:     hidden_global_offset_z
      - .offset:         88
        .size:           2
        .value_kind:     hidden_grid_dims
    .group_segment_fixed_size: 4
    .kernarg_segment_align: 8
    .kernarg_segment_size: 280
    .language:       OpenCL C
    .language_version:
      - 2
      - 0
    .max_flat_workgroup_size: 64
    .name:           _Z6kernelI14inclusive_scanILN6hipcub18BlockScanAlgorithmE0EEfLj64ELj8ELj100EEvPKT0_PS4_S4_
    .private_segment_fixed_size: 0
    .sgpr_count:     25
    .sgpr_spill_count: 0
    .symbol:         _Z6kernelI14inclusive_scanILN6hipcub18BlockScanAlgorithmE0EEfLj64ELj8ELj100EEvPKT0_PS4_S4_.kd
    .uniform_work_group_size: 1
    .uses_dynamic_stack: false
    .vgpr_count:     14
    .vgpr_spill_count: 0
    .wavefront_size: 64
  - .agpr_count:     0
    .args:
      - .address_space:  global
        .offset:         0
        .size:           8
        .value_kind:     global_buffer
      - .address_space:  global
        .offset:         8
        .size:           8
        .value_kind:     global_buffer
      - .offset:         16
        .size:           4
        .value_kind:     by_value
      - .offset:         24
        .size:           4
        .value_kind:     hidden_block_count_x
      - .offset:         28
        .size:           4
        .value_kind:     hidden_block_count_y
      - .offset:         32
        .size:           4
        .value_kind:     hidden_block_count_z
      - .offset:         36
        .size:           2
        .value_kind:     hidden_group_size_x
      - .offset:         38
        .size:           2
        .value_kind:     hidden_group_size_y
      - .offset:         40
        .size:           2
        .value_kind:     hidden_group_size_z
      - .offset:         42
        .size:           2
        .value_kind:     hidden_remainder_x
      - .offset:         44
        .size:           2
        .value_kind:     hidden_remainder_y
      - .offset:         46
        .size:           2
        .value_kind:     hidden_remainder_z
      - .offset:         64
        .size:           8
        .value_kind:     hidden_global_offset_x
      - .offset:         72
        .size:           8
        .value_kind:     hidden_global_offset_y
      - .offset:         80
        .size:           8
        .value_kind:     hidden_global_offset_z
      - .offset:         88
        .size:           2
        .value_kind:     hidden_grid_dims
    .group_segment_fixed_size: 4
    .kernarg_segment_align: 8
    .kernarg_segment_size: 280
    .language:       OpenCL C
    .language_version:
      - 2
      - 0
    .max_flat_workgroup_size: 64
    .name:           _Z6kernelI14inclusive_scanILN6hipcub18BlockScanAlgorithmE0EEfLj64ELj11ELj100EEvPKT0_PS4_S4_
    .private_segment_fixed_size: 0
    .sgpr_count:     25
    .sgpr_spill_count: 0
    .symbol:         _Z6kernelI14inclusive_scanILN6hipcub18BlockScanAlgorithmE0EEfLj64ELj11ELj100EEvPKT0_PS4_S4_.kd
    .uniform_work_group_size: 1
    .uses_dynamic_stack: false
    .vgpr_count:     42
    .vgpr_spill_count: 0
    .wavefront_size: 64
  - .agpr_count:     0
    .args:
      - .address_space:  global
        .offset:         0
        .size:           8
        .value_kind:     global_buffer
      - .address_space:  global
        .offset:         8
        .size:           8
        .value_kind:     global_buffer
      - .offset:         16
        .size:           4
        .value_kind:     by_value
      - .offset:         24
        .size:           4
        .value_kind:     hidden_block_count_x
      - .offset:         28
        .size:           4
        .value_kind:     hidden_block_count_y
      - .offset:         32
        .size:           4
        .value_kind:     hidden_block_count_z
      - .offset:         36
        .size:           2
        .value_kind:     hidden_group_size_x
      - .offset:         38
        .size:           2
        .value_kind:     hidden_group_size_y
      - .offset:         40
        .size:           2
        .value_kind:     hidden_group_size_z
      - .offset:         42
        .size:           2
        .value_kind:     hidden_remainder_x
      - .offset:         44
        .size:           2
        .value_kind:     hidden_remainder_y
      - .offset:         46
        .size:           2
        .value_kind:     hidden_remainder_z
      - .offset:         64
        .size:           8
        .value_kind:     hidden_global_offset_x
      - .offset:         72
        .size:           8
        .value_kind:     hidden_global_offset_y
      - .offset:         80
        .size:           8
        .value_kind:     hidden_global_offset_z
      - .offset:         88
        .size:           2
        .value_kind:     hidden_grid_dims
    .group_segment_fixed_size: 4
    .kernarg_segment_align: 8
    .kernarg_segment_size: 280
    .language:       OpenCL C
    .language_version:
      - 2
      - 0
    .max_flat_workgroup_size: 64
    .name:           _Z6kernelI14inclusive_scanILN6hipcub18BlockScanAlgorithmE0EEfLj64ELj16ELj100EEvPKT0_PS4_S4_
    .private_segment_fixed_size: 0
    .sgpr_count:     25
    .sgpr_spill_count: 0
    .symbol:         _Z6kernelI14inclusive_scanILN6hipcub18BlockScanAlgorithmE0EEfLj64ELj16ELj100EEvPKT0_PS4_S4_.kd
    .uniform_work_group_size: 1
    .uses_dynamic_stack: false
    .vgpr_count:     22
    .vgpr_spill_count: 0
    .wavefront_size: 64
  - .agpr_count:     0
    .args:
      - .address_space:  global
        .offset:         0
        .size:           8
        .value_kind:     global_buffer
      - .address_space:  global
        .offset:         8
        .size:           8
        .value_kind:     global_buffer
      - .offset:         16
        .size:           8
        .value_kind:     by_value
      - .offset:         24
        .size:           4
        .value_kind:     hidden_block_count_x
      - .offset:         28
        .size:           4
        .value_kind:     hidden_block_count_y
      - .offset:         32
        .size:           4
        .value_kind:     hidden_block_count_z
      - .offset:         36
        .size:           2
        .value_kind:     hidden_group_size_x
      - .offset:         38
        .size:           2
        .value_kind:     hidden_group_size_y
      - .offset:         40
        .size:           2
        .value_kind:     hidden_group_size_z
      - .offset:         42
        .size:           2
        .value_kind:     hidden_remainder_x
      - .offset:         44
        .size:           2
        .value_kind:     hidden_remainder_y
      - .offset:         46
        .size:           2
        .value_kind:     hidden_remainder_z
      - .offset:         64
        .size:           8
        .value_kind:     hidden_global_offset_x
      - .offset:         72
        .size:           8
        .value_kind:     hidden_global_offset_y
      - .offset:         80
        .size:           8
        .value_kind:     hidden_global_offset_z
      - .offset:         88
        .size:           2
        .value_kind:     hidden_grid_dims
    .group_segment_fixed_size: 8
    .kernarg_segment_align: 8
    .kernarg_segment_size: 280
    .language:       OpenCL C
    .language_version:
      - 2
      - 0
    .max_flat_workgroup_size: 64
    .name:           _Z6kernelI14inclusive_scanILN6hipcub18BlockScanAlgorithmE0EEdLj64ELj1ELj100EEvPKT0_PS4_S4_
    .private_segment_fixed_size: 0
    .sgpr_count:     25
    .sgpr_spill_count: 0
    .symbol:         _Z6kernelI14inclusive_scanILN6hipcub18BlockScanAlgorithmE0EEdLj64ELj1ELj100EEvPKT0_PS4_S4_.kd
    .uniform_work_group_size: 1
    .uses_dynamic_stack: false
    .vgpr_count:     8
    .vgpr_spill_count: 0
    .wavefront_size: 64
  - .agpr_count:     0
    .args:
      - .address_space:  global
        .offset:         0
        .size:           8
        .value_kind:     global_buffer
      - .address_space:  global
        .offset:         8
        .size:           8
        .value_kind:     global_buffer
      - .offset:         16
        .size:           8
        .value_kind:     by_value
      - .offset:         24
        .size:           4
        .value_kind:     hidden_block_count_x
      - .offset:         28
        .size:           4
        .value_kind:     hidden_block_count_y
      - .offset:         32
        .size:           4
        .value_kind:     hidden_block_count_z
      - .offset:         36
        .size:           2
        .value_kind:     hidden_group_size_x
      - .offset:         38
        .size:           2
        .value_kind:     hidden_group_size_y
      - .offset:         40
        .size:           2
        .value_kind:     hidden_group_size_z
      - .offset:         42
        .size:           2
        .value_kind:     hidden_remainder_x
      - .offset:         44
        .size:           2
        .value_kind:     hidden_remainder_y
      - .offset:         46
        .size:           2
        .value_kind:     hidden_remainder_z
      - .offset:         64
        .size:           8
        .value_kind:     hidden_global_offset_x
      - .offset:         72
        .size:           8
        .value_kind:     hidden_global_offset_y
      - .offset:         80
        .size:           8
        .value_kind:     hidden_global_offset_z
      - .offset:         88
        .size:           2
        .value_kind:     hidden_grid_dims
    .group_segment_fixed_size: 8
    .kernarg_segment_align: 8
    .kernarg_segment_size: 280
    .language:       OpenCL C
    .language_version:
      - 2
      - 0
    .max_flat_workgroup_size: 64
    .name:           _Z6kernelI14inclusive_scanILN6hipcub18BlockScanAlgorithmE0EEdLj64ELj3ELj100EEvPKT0_PS4_S4_
    .private_segment_fixed_size: 0
    .sgpr_count:     27
    .sgpr_spill_count: 0
    .symbol:         _Z6kernelI14inclusive_scanILN6hipcub18BlockScanAlgorithmE0EEdLj64ELj3ELj100EEvPKT0_PS4_S4_.kd
    .uniform_work_group_size: 1
    .uses_dynamic_stack: false
    .vgpr_count:     20
    .vgpr_spill_count: 0
    .wavefront_size: 64
  - .agpr_count:     0
    .args:
      - .address_space:  global
        .offset:         0
        .size:           8
        .value_kind:     global_buffer
      - .address_space:  global
        .offset:         8
        .size:           8
        .value_kind:     global_buffer
      - .offset:         16
        .size:           8
        .value_kind:     by_value
      - .offset:         24
        .size:           4
        .value_kind:     hidden_block_count_x
      - .offset:         28
        .size:           4
        .value_kind:     hidden_block_count_y
      - .offset:         32
        .size:           4
        .value_kind:     hidden_block_count_z
      - .offset:         36
        .size:           2
        .value_kind:     hidden_group_size_x
      - .offset:         38
        .size:           2
        .value_kind:     hidden_group_size_y
      - .offset:         40
        .size:           2
        .value_kind:     hidden_group_size_z
      - .offset:         42
        .size:           2
        .value_kind:     hidden_remainder_x
      - .offset:         44
        .size:           2
        .value_kind:     hidden_remainder_y
      - .offset:         46
        .size:           2
        .value_kind:     hidden_remainder_z
      - .offset:         64
        .size:           8
        .value_kind:     hidden_global_offset_x
      - .offset:         72
        .size:           8
        .value_kind:     hidden_global_offset_y
      - .offset:         80
        .size:           8
        .value_kind:     hidden_global_offset_z
      - .offset:         88
        .size:           2
        .value_kind:     hidden_grid_dims
    .group_segment_fixed_size: 8
    .kernarg_segment_align: 8
    .kernarg_segment_size: 280
    .language:       OpenCL C
    .language_version:
      - 2
      - 0
    .max_flat_workgroup_size: 64
    .name:           _Z6kernelI14inclusive_scanILN6hipcub18BlockScanAlgorithmE0EEdLj64ELj4ELj100EEvPKT0_PS4_S4_
    .private_segment_fixed_size: 0
    .sgpr_count:     27
    .sgpr_spill_count: 0
    .symbol:         _Z6kernelI14inclusive_scanILN6hipcub18BlockScanAlgorithmE0EEdLj64ELj4ELj100EEvPKT0_PS4_S4_.kd
    .uniform_work_group_size: 1
    .uses_dynamic_stack: false
    .vgpr_count:     18
    .vgpr_spill_count: 0
    .wavefront_size: 64
  - .agpr_count:     0
    .args:
      - .address_space:  global
        .offset:         0
        .size:           8
        .value_kind:     global_buffer
      - .address_space:  global
        .offset:         8
        .size:           8
        .value_kind:     global_buffer
      - .offset:         16
        .size:           8
        .value_kind:     by_value
      - .offset:         24
        .size:           4
        .value_kind:     hidden_block_count_x
      - .offset:         28
        .size:           4
        .value_kind:     hidden_block_count_y
      - .offset:         32
        .size:           4
        .value_kind:     hidden_block_count_z
      - .offset:         36
        .size:           2
        .value_kind:     hidden_group_size_x
      - .offset:         38
        .size:           2
        .value_kind:     hidden_group_size_y
      - .offset:         40
        .size:           2
        .value_kind:     hidden_group_size_z
      - .offset:         42
        .size:           2
        .value_kind:     hidden_remainder_x
      - .offset:         44
        .size:           2
        .value_kind:     hidden_remainder_y
      - .offset:         46
        .size:           2
        .value_kind:     hidden_remainder_z
      - .offset:         64
        .size:           8
        .value_kind:     hidden_global_offset_x
      - .offset:         72
        .size:           8
        .value_kind:     hidden_global_offset_y
      - .offset:         80
        .size:           8
        .value_kind:     hidden_global_offset_z
      - .offset:         88
        .size:           2
        .value_kind:     hidden_grid_dims
    .group_segment_fixed_size: 8
    .kernarg_segment_align: 8
    .kernarg_segment_size: 280
    .language:       OpenCL C
    .language_version:
      - 2
      - 0
    .max_flat_workgroup_size: 64
    .name:           _Z6kernelI14inclusive_scanILN6hipcub18BlockScanAlgorithmE0EEdLj64ELj8ELj100EEvPKT0_PS4_S4_
    .private_segment_fixed_size: 0
    .sgpr_count:     27
    .sgpr_spill_count: 0
    .symbol:         _Z6kernelI14inclusive_scanILN6hipcub18BlockScanAlgorithmE0EEdLj64ELj8ELj100EEvPKT0_PS4_S4_.kd
    .uniform_work_group_size: 1
    .uses_dynamic_stack: false
    .vgpr_count:     26
    .vgpr_spill_count: 0
    .wavefront_size: 64
  - .agpr_count:     0
    .args:
      - .address_space:  global
        .offset:         0
        .size:           8
        .value_kind:     global_buffer
      - .address_space:  global
        .offset:         8
        .size:           8
        .value_kind:     global_buffer
      - .offset:         16
        .size:           8
        .value_kind:     by_value
      - .offset:         24
        .size:           4
        .value_kind:     hidden_block_count_x
      - .offset:         28
        .size:           4
        .value_kind:     hidden_block_count_y
      - .offset:         32
        .size:           4
        .value_kind:     hidden_block_count_z
      - .offset:         36
        .size:           2
        .value_kind:     hidden_group_size_x
      - .offset:         38
        .size:           2
        .value_kind:     hidden_group_size_y
      - .offset:         40
        .size:           2
        .value_kind:     hidden_group_size_z
      - .offset:         42
        .size:           2
        .value_kind:     hidden_remainder_x
      - .offset:         44
        .size:           2
        .value_kind:     hidden_remainder_y
      - .offset:         46
        .size:           2
        .value_kind:     hidden_remainder_z
      - .offset:         64
        .size:           8
        .value_kind:     hidden_global_offset_x
      - .offset:         72
        .size:           8
        .value_kind:     hidden_global_offset_y
      - .offset:         80
        .size:           8
        .value_kind:     hidden_global_offset_z
      - .offset:         88
        .size:           2
        .value_kind:     hidden_grid_dims
    .group_segment_fixed_size: 8
    .kernarg_segment_align: 8
    .kernarg_segment_size: 280
    .language:       OpenCL C
    .language_version:
      - 2
      - 0
    .max_flat_workgroup_size: 64
    .name:           _Z6kernelI14inclusive_scanILN6hipcub18BlockScanAlgorithmE0EEdLj64ELj11ELj100EEvPKT0_PS4_S4_
    .private_segment_fixed_size: 0
    .sgpr_count:     27
    .sgpr_spill_count: 0
    .symbol:         _Z6kernelI14inclusive_scanILN6hipcub18BlockScanAlgorithmE0EEdLj64ELj11ELj100EEvPKT0_PS4_S4_.kd
    .uniform_work_group_size: 1
    .uses_dynamic_stack: false
    .vgpr_count:     52
    .vgpr_spill_count: 0
    .wavefront_size: 64
  - .agpr_count:     0
    .args:
      - .address_space:  global
        .offset:         0
        .size:           8
        .value_kind:     global_buffer
      - .address_space:  global
        .offset:         8
        .size:           8
        .value_kind:     global_buffer
      - .offset:         16
        .size:           8
        .value_kind:     by_value
      - .offset:         24
        .size:           4
        .value_kind:     hidden_block_count_x
      - .offset:         28
        .size:           4
        .value_kind:     hidden_block_count_y
      - .offset:         32
        .size:           4
        .value_kind:     hidden_block_count_z
      - .offset:         36
        .size:           2
        .value_kind:     hidden_group_size_x
      - .offset:         38
        .size:           2
        .value_kind:     hidden_group_size_y
      - .offset:         40
        .size:           2
        .value_kind:     hidden_group_size_z
      - .offset:         42
        .size:           2
        .value_kind:     hidden_remainder_x
      - .offset:         44
        .size:           2
        .value_kind:     hidden_remainder_y
      - .offset:         46
        .size:           2
        .value_kind:     hidden_remainder_z
      - .offset:         64
        .size:           8
        .value_kind:     hidden_global_offset_x
      - .offset:         72
        .size:           8
        .value_kind:     hidden_global_offset_y
      - .offset:         80
        .size:           8
        .value_kind:     hidden_global_offset_z
      - .offset:         88
        .size:           2
        .value_kind:     hidden_grid_dims
    .group_segment_fixed_size: 8
    .kernarg_segment_align: 8
    .kernarg_segment_size: 280
    .language:       OpenCL C
    .language_version:
      - 2
      - 0
    .max_flat_workgroup_size: 64
    .name:           _Z6kernelI14inclusive_scanILN6hipcub18BlockScanAlgorithmE0EEdLj64ELj16ELj100EEvPKT0_PS4_S4_
    .private_segment_fixed_size: 0
    .sgpr_count:     27
    .sgpr_spill_count: 0
    .symbol:         _Z6kernelI14inclusive_scanILN6hipcub18BlockScanAlgorithmE0EEdLj64ELj16ELj100EEvPKT0_PS4_S4_.kd
    .uniform_work_group_size: 1
    .uses_dynamic_stack: false
    .vgpr_count:     42
    .vgpr_spill_count: 0
    .wavefront_size: 64
  - .agpr_count:     0
    .args:
      - .address_space:  global
        .offset:         0
        .size:           8
        .value_kind:     global_buffer
      - .address_space:  global
        .offset:         8
        .size:           8
        .value_kind:     global_buffer
      - .offset:         16
        .size:           1
        .value_kind:     by_value
      - .offset:         24
        .size:           4
        .value_kind:     hidden_block_count_x
      - .offset:         28
        .size:           4
        .value_kind:     hidden_block_count_y
      - .offset:         32
        .size:           4
        .value_kind:     hidden_block_count_z
      - .offset:         36
        .size:           2
        .value_kind:     hidden_group_size_x
      - .offset:         38
        .size:           2
        .value_kind:     hidden_group_size_y
      - .offset:         40
        .size:           2
        .value_kind:     hidden_group_size_z
      - .offset:         42
        .size:           2
        .value_kind:     hidden_remainder_x
      - .offset:         44
        .size:           2
        .value_kind:     hidden_remainder_y
      - .offset:         46
        .size:           2
        .value_kind:     hidden_remainder_z
      - .offset:         64
        .size:           8
        .value_kind:     hidden_global_offset_x
      - .offset:         72
        .size:           8
        .value_kind:     hidden_global_offset_y
      - .offset:         80
        .size:           8
        .value_kind:     hidden_global_offset_z
      - .offset:         88
        .size:           2
        .value_kind:     hidden_grid_dims
    .group_segment_fixed_size: 1
    .kernarg_segment_align: 8
    .kernarg_segment_size: 280
    .language:       OpenCL C
    .language_version:
      - 2
      - 0
    .max_flat_workgroup_size: 64
    .name:           _Z6kernelI14inclusive_scanILN6hipcub18BlockScanAlgorithmE0EEhLj64ELj1ELj100EEvPKT0_PS4_S4_
    .private_segment_fixed_size: 0
    .sgpr_count:     23
    .sgpr_spill_count: 0
    .symbol:         _Z6kernelI14inclusive_scanILN6hipcub18BlockScanAlgorithmE0EEhLj64ELj1ELj100EEvPKT0_PS4_S4_.kd
    .uniform_work_group_size: 1
    .uses_dynamic_stack: false
    .vgpr_count:     6
    .vgpr_spill_count: 0
    .wavefront_size: 64
  - .agpr_count:     0
    .args:
      - .address_space:  global
        .offset:         0
        .size:           8
        .value_kind:     global_buffer
      - .address_space:  global
        .offset:         8
        .size:           8
        .value_kind:     global_buffer
      - .offset:         16
        .size:           1
        .value_kind:     by_value
      - .offset:         24
        .size:           4
        .value_kind:     hidden_block_count_x
      - .offset:         28
        .size:           4
        .value_kind:     hidden_block_count_y
      - .offset:         32
        .size:           4
        .value_kind:     hidden_block_count_z
      - .offset:         36
        .size:           2
        .value_kind:     hidden_group_size_x
      - .offset:         38
        .size:           2
        .value_kind:     hidden_group_size_y
      - .offset:         40
        .size:           2
        .value_kind:     hidden_group_size_z
      - .offset:         42
        .size:           2
        .value_kind:     hidden_remainder_x
      - .offset:         44
        .size:           2
        .value_kind:     hidden_remainder_y
      - .offset:         46
        .size:           2
        .value_kind:     hidden_remainder_z
      - .offset:         64
        .size:           8
        .value_kind:     hidden_global_offset_x
      - .offset:         72
        .size:           8
        .value_kind:     hidden_global_offset_y
      - .offset:         80
        .size:           8
        .value_kind:     hidden_global_offset_z
      - .offset:         88
        .size:           2
        .value_kind:     hidden_grid_dims
    .group_segment_fixed_size: 1
    .kernarg_segment_align: 8
    .kernarg_segment_size: 280
    .language:       OpenCL C
    .language_version:
      - 2
      - 0
    .max_flat_workgroup_size: 64
    .name:           _Z6kernelI14inclusive_scanILN6hipcub18BlockScanAlgorithmE0EEhLj64ELj3ELj100EEvPKT0_PS4_S4_
    .private_segment_fixed_size: 0
    .sgpr_count:     26
    .sgpr_spill_count: 0
    .symbol:         _Z6kernelI14inclusive_scanILN6hipcub18BlockScanAlgorithmE0EEhLj64ELj3ELj100EEvPKT0_PS4_S4_.kd
    .uniform_work_group_size: 1
    .uses_dynamic_stack: false
    .vgpr_count:     14
    .vgpr_spill_count: 0
    .wavefront_size: 64
  - .agpr_count:     0
    .args:
      - .address_space:  global
        .offset:         0
        .size:           8
        .value_kind:     global_buffer
      - .address_space:  global
        .offset:         8
        .size:           8
        .value_kind:     global_buffer
      - .offset:         16
        .size:           1
        .value_kind:     by_value
      - .offset:         24
        .size:           4
        .value_kind:     hidden_block_count_x
      - .offset:         28
        .size:           4
        .value_kind:     hidden_block_count_y
      - .offset:         32
        .size:           4
        .value_kind:     hidden_block_count_z
      - .offset:         36
        .size:           2
        .value_kind:     hidden_group_size_x
      - .offset:         38
        .size:           2
        .value_kind:     hidden_group_size_y
      - .offset:         40
        .size:           2
        .value_kind:     hidden_group_size_z
      - .offset:         42
        .size:           2
        .value_kind:     hidden_remainder_x
      - .offset:         44
        .size:           2
        .value_kind:     hidden_remainder_y
      - .offset:         46
        .size:           2
        .value_kind:     hidden_remainder_z
      - .offset:         64
        .size:           8
        .value_kind:     hidden_global_offset_x
      - .offset:         72
        .size:           8
        .value_kind:     hidden_global_offset_y
      - .offset:         80
        .size:           8
        .value_kind:     hidden_global_offset_z
      - .offset:         88
        .size:           2
        .value_kind:     hidden_grid_dims
    .group_segment_fixed_size: 1
    .kernarg_segment_align: 8
    .kernarg_segment_size: 280
    .language:       OpenCL C
    .language_version:
      - 2
      - 0
    .max_flat_workgroup_size: 64
    .name:           _Z6kernelI14inclusive_scanILN6hipcub18BlockScanAlgorithmE0EEhLj64ELj4ELj100EEvPKT0_PS4_S4_
    .private_segment_fixed_size: 0
    .sgpr_count:     25
    .sgpr_spill_count: 0
    .symbol:         _Z6kernelI14inclusive_scanILN6hipcub18BlockScanAlgorithmE0EEhLj64ELj4ELj100EEvPKT0_PS4_S4_.kd
    .uniform_work_group_size: 1
    .uses_dynamic_stack: false
    .vgpr_count:     7
    .vgpr_spill_count: 0
    .wavefront_size: 64
  - .agpr_count:     0
    .args:
      - .address_space:  global
        .offset:         0
        .size:           8
        .value_kind:     global_buffer
      - .address_space:  global
        .offset:         8
        .size:           8
        .value_kind:     global_buffer
      - .offset:         16
        .size:           1
        .value_kind:     by_value
      - .offset:         24
        .size:           4
        .value_kind:     hidden_block_count_x
      - .offset:         28
        .size:           4
        .value_kind:     hidden_block_count_y
      - .offset:         32
        .size:           4
        .value_kind:     hidden_block_count_z
      - .offset:         36
        .size:           2
        .value_kind:     hidden_group_size_x
      - .offset:         38
        .size:           2
        .value_kind:     hidden_group_size_y
      - .offset:         40
        .size:           2
        .value_kind:     hidden_group_size_z
      - .offset:         42
        .size:           2
        .value_kind:     hidden_remainder_x
      - .offset:         44
        .size:           2
        .value_kind:     hidden_remainder_y
      - .offset:         46
        .size:           2
        .value_kind:     hidden_remainder_z
      - .offset:         64
        .size:           8
        .value_kind:     hidden_global_offset_x
      - .offset:         72
        .size:           8
        .value_kind:     hidden_global_offset_y
      - .offset:         80
        .size:           8
        .value_kind:     hidden_global_offset_z
      - .offset:         88
        .size:           2
        .value_kind:     hidden_grid_dims
    .group_segment_fixed_size: 1
    .kernarg_segment_align: 8
    .kernarg_segment_size: 280
    .language:       OpenCL C
    .language_version:
      - 2
      - 0
    .max_flat_workgroup_size: 64
    .name:           _Z6kernelI14inclusive_scanILN6hipcub18BlockScanAlgorithmE0EEhLj64ELj8ELj100EEvPKT0_PS4_S4_
    .private_segment_fixed_size: 0
    .sgpr_count:     25
    .sgpr_spill_count: 0
    .symbol:         _Z6kernelI14inclusive_scanILN6hipcub18BlockScanAlgorithmE0EEhLj64ELj8ELj100EEvPKT0_PS4_S4_.kd
    .uniform_work_group_size: 1
    .uses_dynamic_stack: false
    .vgpr_count:     10
    .vgpr_spill_count: 0
    .wavefront_size: 64
  - .agpr_count:     0
    .args:
      - .address_space:  global
        .offset:         0
        .size:           8
        .value_kind:     global_buffer
      - .address_space:  global
        .offset:         8
        .size:           8
        .value_kind:     global_buffer
      - .offset:         16
        .size:           1
        .value_kind:     by_value
      - .offset:         24
        .size:           4
        .value_kind:     hidden_block_count_x
      - .offset:         28
        .size:           4
        .value_kind:     hidden_block_count_y
      - .offset:         32
        .size:           4
        .value_kind:     hidden_block_count_z
      - .offset:         36
        .size:           2
        .value_kind:     hidden_group_size_x
      - .offset:         38
        .size:           2
        .value_kind:     hidden_group_size_y
      - .offset:         40
        .size:           2
        .value_kind:     hidden_group_size_z
      - .offset:         42
        .size:           2
        .value_kind:     hidden_remainder_x
      - .offset:         44
        .size:           2
        .value_kind:     hidden_remainder_y
      - .offset:         46
        .size:           2
        .value_kind:     hidden_remainder_z
      - .offset:         64
        .size:           8
        .value_kind:     hidden_global_offset_x
      - .offset:         72
        .size:           8
        .value_kind:     hidden_global_offset_y
      - .offset:         80
        .size:           8
        .value_kind:     hidden_global_offset_z
      - .offset:         88
        .size:           2
        .value_kind:     hidden_grid_dims
    .group_segment_fixed_size: 1
    .kernarg_segment_align: 8
    .kernarg_segment_size: 280
    .language:       OpenCL C
    .language_version:
      - 2
      - 0
    .max_flat_workgroup_size: 64
    .name:           _Z6kernelI14inclusive_scanILN6hipcub18BlockScanAlgorithmE0EEhLj64ELj11ELj100EEvPKT0_PS4_S4_
    .private_segment_fixed_size: 0
    .sgpr_count:     26
    .sgpr_spill_count: 0
    .symbol:         _Z6kernelI14inclusive_scanILN6hipcub18BlockScanAlgorithmE0EEhLj64ELj11ELj100EEvPKT0_PS4_S4_.kd
    .uniform_work_group_size: 1
    .uses_dynamic_stack: false
    .vgpr_count:     38
    .vgpr_spill_count: 0
    .wavefront_size: 64
  - .agpr_count:     0
    .args:
      - .address_space:  global
        .offset:         0
        .size:           8
        .value_kind:     global_buffer
      - .address_space:  global
        .offset:         8
        .size:           8
        .value_kind:     global_buffer
      - .offset:         16
        .size:           1
        .value_kind:     by_value
      - .offset:         24
        .size:           4
        .value_kind:     hidden_block_count_x
      - .offset:         28
        .size:           4
        .value_kind:     hidden_block_count_y
      - .offset:         32
        .size:           4
        .value_kind:     hidden_block_count_z
      - .offset:         36
        .size:           2
        .value_kind:     hidden_group_size_x
      - .offset:         38
        .size:           2
        .value_kind:     hidden_group_size_y
      - .offset:         40
        .size:           2
        .value_kind:     hidden_group_size_z
      - .offset:         42
        .size:           2
        .value_kind:     hidden_remainder_x
      - .offset:         44
        .size:           2
        .value_kind:     hidden_remainder_y
      - .offset:         46
        .size:           2
        .value_kind:     hidden_remainder_z
      - .offset:         64
        .size:           8
        .value_kind:     hidden_global_offset_x
      - .offset:         72
        .size:           8
        .value_kind:     hidden_global_offset_y
      - .offset:         80
        .size:           8
        .value_kind:     hidden_global_offset_z
      - .offset:         88
        .size:           2
        .value_kind:     hidden_grid_dims
    .group_segment_fixed_size: 1
    .kernarg_segment_align: 8
    .kernarg_segment_size: 280
    .language:       OpenCL C
    .language_version:
      - 2
      - 0
    .max_flat_workgroup_size: 64
    .name:           _Z6kernelI14inclusive_scanILN6hipcub18BlockScanAlgorithmE0EEhLj64ELj16ELj100EEvPKT0_PS4_S4_
    .private_segment_fixed_size: 0
    .sgpr_count:     25
    .sgpr_spill_count: 0
    .symbol:         _Z6kernelI14inclusive_scanILN6hipcub18BlockScanAlgorithmE0EEhLj64ELj16ELj100EEvPKT0_PS4_S4_.kd
    .uniform_work_group_size: 1
    .uses_dynamic_stack: false
    .vgpr_count:     20
    .vgpr_spill_count: 0
    .wavefront_size: 64
  - .agpr_count:     0
    .args:
      - .address_space:  global
        .offset:         0
        .size:           8
        .value_kind:     global_buffer
      - .address_space:  global
        .offset:         8
        .size:           8
        .value_kind:     global_buffer
      - .offset:         16
        .size:           4
        .value_kind:     by_value
      - .offset:         24
        .size:           4
        .value_kind:     hidden_block_count_x
      - .offset:         28
        .size:           4
        .value_kind:     hidden_block_count_y
      - .offset:         32
        .size:           4
        .value_kind:     hidden_block_count_z
      - .offset:         36
        .size:           2
        .value_kind:     hidden_group_size_x
      - .offset:         38
        .size:           2
        .value_kind:     hidden_group_size_y
      - .offset:         40
        .size:           2
        .value_kind:     hidden_group_size_z
      - .offset:         42
        .size:           2
        .value_kind:     hidden_remainder_x
      - .offset:         44
        .size:           2
        .value_kind:     hidden_remainder_y
      - .offset:         46
        .size:           2
        .value_kind:     hidden_remainder_z
      - .offset:         64
        .size:           8
        .value_kind:     hidden_global_offset_x
      - .offset:         72
        .size:           8
        .value_kind:     hidden_global_offset_y
      - .offset:         80
        .size:           8
        .value_kind:     hidden_global_offset_z
      - .offset:         88
        .size:           2
        .value_kind:     hidden_grid_dims
    .group_segment_fixed_size: 16
    .kernarg_segment_align: 8
    .kernarg_segment_size: 280
    .language:       OpenCL C
    .language_version:
      - 2
      - 0
    .max_flat_workgroup_size: 256
    .name:           _Z6kernelI14inclusive_scanILN6hipcub18BlockScanAlgorithmE0EEiLj256ELj1ELj100EEvPKT0_PS4_S4_
    .private_segment_fixed_size: 0
    .sgpr_count:     31
    .sgpr_spill_count: 0
    .symbol:         _Z6kernelI14inclusive_scanILN6hipcub18BlockScanAlgorithmE0EEiLj256ELj1ELj100EEvPKT0_PS4_S4_.kd
    .uniform_work_group_size: 1
    .uses_dynamic_stack: false
    .vgpr_count:     8
    .vgpr_spill_count: 0
    .wavefront_size: 64
  - .agpr_count:     0
    .args:
      - .address_space:  global
        .offset:         0
        .size:           8
        .value_kind:     global_buffer
      - .address_space:  global
        .offset:         8
        .size:           8
        .value_kind:     global_buffer
      - .offset:         16
        .size:           4
        .value_kind:     by_value
      - .offset:         24
        .size:           4
        .value_kind:     hidden_block_count_x
      - .offset:         28
        .size:           4
        .value_kind:     hidden_block_count_y
      - .offset:         32
        .size:           4
        .value_kind:     hidden_block_count_z
      - .offset:         36
        .size:           2
        .value_kind:     hidden_group_size_x
      - .offset:         38
        .size:           2
        .value_kind:     hidden_group_size_y
      - .offset:         40
        .size:           2
        .value_kind:     hidden_group_size_z
      - .offset:         42
        .size:           2
        .value_kind:     hidden_remainder_x
      - .offset:         44
        .size:           2
        .value_kind:     hidden_remainder_y
      - .offset:         46
        .size:           2
        .value_kind:     hidden_remainder_z
      - .offset:         64
        .size:           8
        .value_kind:     hidden_global_offset_x
      - .offset:         72
        .size:           8
        .value_kind:     hidden_global_offset_y
      - .offset:         80
        .size:           8
        .value_kind:     hidden_global_offset_z
      - .offset:         88
        .size:           2
        .value_kind:     hidden_grid_dims
    .group_segment_fixed_size: 16
    .kernarg_segment_align: 8
    .kernarg_segment_size: 280
    .language:       OpenCL C
    .language_version:
      - 2
      - 0
    .max_flat_workgroup_size: 256
    .name:           _Z6kernelI14inclusive_scanILN6hipcub18BlockScanAlgorithmE0EEiLj256ELj3ELj100EEvPKT0_PS4_S4_
    .private_segment_fixed_size: 0
    .sgpr_count:     35
    .sgpr_spill_count: 0
    .symbol:         _Z6kernelI14inclusive_scanILN6hipcub18BlockScanAlgorithmE0EEiLj256ELj3ELj100EEvPKT0_PS4_S4_.kd
    .uniform_work_group_size: 1
    .uses_dynamic_stack: false
    .vgpr_count:     16
    .vgpr_spill_count: 0
    .wavefront_size: 64
  - .agpr_count:     0
    .args:
      - .address_space:  global
        .offset:         0
        .size:           8
        .value_kind:     global_buffer
      - .address_space:  global
        .offset:         8
        .size:           8
        .value_kind:     global_buffer
      - .offset:         16
        .size:           4
        .value_kind:     by_value
      - .offset:         24
        .size:           4
        .value_kind:     hidden_block_count_x
      - .offset:         28
        .size:           4
        .value_kind:     hidden_block_count_y
      - .offset:         32
        .size:           4
        .value_kind:     hidden_block_count_z
      - .offset:         36
        .size:           2
        .value_kind:     hidden_group_size_x
      - .offset:         38
        .size:           2
        .value_kind:     hidden_group_size_y
      - .offset:         40
        .size:           2
        .value_kind:     hidden_group_size_z
      - .offset:         42
        .size:           2
        .value_kind:     hidden_remainder_x
      - .offset:         44
        .size:           2
        .value_kind:     hidden_remainder_y
      - .offset:         46
        .size:           2
        .value_kind:     hidden_remainder_z
      - .offset:         64
        .size:           8
        .value_kind:     hidden_global_offset_x
      - .offset:         72
        .size:           8
        .value_kind:     hidden_global_offset_y
      - .offset:         80
        .size:           8
        .value_kind:     hidden_global_offset_z
      - .offset:         88
        .size:           2
        .value_kind:     hidden_grid_dims
    .group_segment_fixed_size: 16
    .kernarg_segment_align: 8
    .kernarg_segment_size: 280
    .language:       OpenCL C
    .language_version:
      - 2
      - 0
    .max_flat_workgroup_size: 256
    .name:           _Z6kernelI14inclusive_scanILN6hipcub18BlockScanAlgorithmE0EEiLj256ELj4ELj100EEvPKT0_PS4_S4_
    .private_segment_fixed_size: 0
    .sgpr_count:     35
    .sgpr_spill_count: 0
    .symbol:         _Z6kernelI14inclusive_scanILN6hipcub18BlockScanAlgorithmE0EEiLj256ELj4ELj100EEvPKT0_PS4_S4_.kd
    .uniform_work_group_size: 1
    .uses_dynamic_stack: false
    .vgpr_count:     13
    .vgpr_spill_count: 0
    .wavefront_size: 64
  - .agpr_count:     0
    .args:
      - .address_space:  global
        .offset:         0
        .size:           8
        .value_kind:     global_buffer
      - .address_space:  global
        .offset:         8
        .size:           8
        .value_kind:     global_buffer
      - .offset:         16
        .size:           4
        .value_kind:     by_value
      - .offset:         24
        .size:           4
        .value_kind:     hidden_block_count_x
      - .offset:         28
        .size:           4
        .value_kind:     hidden_block_count_y
      - .offset:         32
        .size:           4
        .value_kind:     hidden_block_count_z
      - .offset:         36
        .size:           2
        .value_kind:     hidden_group_size_x
      - .offset:         38
        .size:           2
        .value_kind:     hidden_group_size_y
      - .offset:         40
        .size:           2
        .value_kind:     hidden_group_size_z
      - .offset:         42
        .size:           2
        .value_kind:     hidden_remainder_x
      - .offset:         44
        .size:           2
        .value_kind:     hidden_remainder_y
      - .offset:         46
        .size:           2
        .value_kind:     hidden_remainder_z
      - .offset:         64
        .size:           8
        .value_kind:     hidden_global_offset_x
      - .offset:         72
        .size:           8
        .value_kind:     hidden_global_offset_y
      - .offset:         80
        .size:           8
        .value_kind:     hidden_global_offset_z
      - .offset:         88
        .size:           2
        .value_kind:     hidden_grid_dims
    .group_segment_fixed_size: 16
    .kernarg_segment_align: 8
    .kernarg_segment_size: 280
    .language:       OpenCL C
    .language_version:
      - 2
      - 0
    .max_flat_workgroup_size: 256
    .name:           _Z6kernelI14inclusive_scanILN6hipcub18BlockScanAlgorithmE0EEiLj256ELj8ELj100EEvPKT0_PS4_S4_
    .private_segment_fixed_size: 0
    .sgpr_count:     35
    .sgpr_spill_count: 0
    .symbol:         _Z6kernelI14inclusive_scanILN6hipcub18BlockScanAlgorithmE0EEiLj256ELj8ELj100EEvPKT0_PS4_S4_.kd
    .uniform_work_group_size: 1
    .uses_dynamic_stack: false
    .vgpr_count:     17
    .vgpr_spill_count: 0
    .wavefront_size: 64
  - .agpr_count:     0
    .args:
      - .address_space:  global
        .offset:         0
        .size:           8
        .value_kind:     global_buffer
      - .address_space:  global
        .offset:         8
        .size:           8
        .value_kind:     global_buffer
      - .offset:         16
        .size:           4
        .value_kind:     by_value
      - .offset:         24
        .size:           4
        .value_kind:     hidden_block_count_x
      - .offset:         28
        .size:           4
        .value_kind:     hidden_block_count_y
      - .offset:         32
        .size:           4
        .value_kind:     hidden_block_count_z
      - .offset:         36
        .size:           2
        .value_kind:     hidden_group_size_x
      - .offset:         38
        .size:           2
        .value_kind:     hidden_group_size_y
      - .offset:         40
        .size:           2
        .value_kind:     hidden_group_size_z
      - .offset:         42
        .size:           2
        .value_kind:     hidden_remainder_x
      - .offset:         44
        .size:           2
        .value_kind:     hidden_remainder_y
      - .offset:         46
        .size:           2
        .value_kind:     hidden_remainder_z
      - .offset:         64
        .size:           8
        .value_kind:     hidden_global_offset_x
      - .offset:         72
        .size:           8
        .value_kind:     hidden_global_offset_y
      - .offset:         80
        .size:           8
        .value_kind:     hidden_global_offset_z
      - .offset:         88
        .size:           2
        .value_kind:     hidden_grid_dims
    .group_segment_fixed_size: 16
    .kernarg_segment_align: 8
    .kernarg_segment_size: 280
    .language:       OpenCL C
    .language_version:
      - 2
      - 0
    .max_flat_workgroup_size: 256
    .name:           _Z6kernelI14inclusive_scanILN6hipcub18BlockScanAlgorithmE0EEiLj256ELj11ELj100EEvPKT0_PS4_S4_
    .private_segment_fixed_size: 0
    .sgpr_count:     35
    .sgpr_spill_count: 0
    .symbol:         _Z6kernelI14inclusive_scanILN6hipcub18BlockScanAlgorithmE0EEiLj256ELj11ELj100EEvPKT0_PS4_S4_.kd
    .uniform_work_group_size: 1
    .uses_dynamic_stack: false
    .vgpr_count:     42
    .vgpr_spill_count: 0
    .wavefront_size: 64
  - .agpr_count:     0
    .args:
      - .address_space:  global
        .offset:         0
        .size:           8
        .value_kind:     global_buffer
      - .address_space:  global
        .offset:         8
        .size:           8
        .value_kind:     global_buffer
      - .offset:         16
        .size:           4
        .value_kind:     by_value
      - .offset:         24
        .size:           4
        .value_kind:     hidden_block_count_x
      - .offset:         28
        .size:           4
        .value_kind:     hidden_block_count_y
      - .offset:         32
        .size:           4
        .value_kind:     hidden_block_count_z
      - .offset:         36
        .size:           2
        .value_kind:     hidden_group_size_x
      - .offset:         38
        .size:           2
        .value_kind:     hidden_group_size_y
      - .offset:         40
        .size:           2
        .value_kind:     hidden_group_size_z
      - .offset:         42
        .size:           2
        .value_kind:     hidden_remainder_x
      - .offset:         44
        .size:           2
        .value_kind:     hidden_remainder_y
      - .offset:         46
        .size:           2
        .value_kind:     hidden_remainder_z
      - .offset:         64
        .size:           8
        .value_kind:     hidden_global_offset_x
      - .offset:         72
        .size:           8
        .value_kind:     hidden_global_offset_y
      - .offset:         80
        .size:           8
        .value_kind:     hidden_global_offset_z
      - .offset:         88
        .size:           2
        .value_kind:     hidden_grid_dims
    .group_segment_fixed_size: 16
    .kernarg_segment_align: 8
    .kernarg_segment_size: 280
    .language:       OpenCL C
    .language_version:
      - 2
      - 0
    .max_flat_workgroup_size: 256
    .name:           _Z6kernelI14inclusive_scanILN6hipcub18BlockScanAlgorithmE0EEiLj256ELj16ELj100EEvPKT0_PS4_S4_
    .private_segment_fixed_size: 0
    .sgpr_count:     35
    .sgpr_spill_count: 0
    .symbol:         _Z6kernelI14inclusive_scanILN6hipcub18BlockScanAlgorithmE0EEiLj256ELj16ELj100EEvPKT0_PS4_S4_.kd
    .uniform_work_group_size: 1
    .uses_dynamic_stack: false
    .vgpr_count:     25
    .vgpr_spill_count: 0
    .wavefront_size: 64
  - .agpr_count:     0
    .args:
      - .address_space:  global
        .offset:         0
        .size:           8
        .value_kind:     global_buffer
      - .address_space:  global
        .offset:         8
        .size:           8
        .value_kind:     global_buffer
      - .offset:         16
        .size:           4
        .value_kind:     by_value
      - .offset:         24
        .size:           4
        .value_kind:     hidden_block_count_x
      - .offset:         28
        .size:           4
        .value_kind:     hidden_block_count_y
      - .offset:         32
        .size:           4
        .value_kind:     hidden_block_count_z
      - .offset:         36
        .size:           2
        .value_kind:     hidden_group_size_x
      - .offset:         38
        .size:           2
        .value_kind:     hidden_group_size_y
      - .offset:         40
        .size:           2
        .value_kind:     hidden_group_size_z
      - .offset:         42
        .size:           2
        .value_kind:     hidden_remainder_x
      - .offset:         44
        .size:           2
        .value_kind:     hidden_remainder_y
      - .offset:         46
        .size:           2
        .value_kind:     hidden_remainder_z
      - .offset:         64
        .size:           8
        .value_kind:     hidden_global_offset_x
      - .offset:         72
        .size:           8
        .value_kind:     hidden_global_offset_y
      - .offset:         80
        .size:           8
        .value_kind:     hidden_global_offset_z
      - .offset:         88
        .size:           2
        .value_kind:     hidden_grid_dims
    .group_segment_fixed_size: 16
    .kernarg_segment_align: 8
    .kernarg_segment_size: 280
    .language:       OpenCL C
    .language_version:
      - 2
      - 0
    .max_flat_workgroup_size: 256
    .name:           _Z6kernelI14inclusive_scanILN6hipcub18BlockScanAlgorithmE0EEfLj256ELj1ELj100EEvPKT0_PS4_S4_
    .private_segment_fixed_size: 0
    .sgpr_count:     31
    .sgpr_spill_count: 0
    .symbol:         _Z6kernelI14inclusive_scanILN6hipcub18BlockScanAlgorithmE0EEfLj256ELj1ELj100EEvPKT0_PS4_S4_.kd
    .uniform_work_group_size: 1
    .uses_dynamic_stack: false
    .vgpr_count:     8
    .vgpr_spill_count: 0
    .wavefront_size: 64
  - .agpr_count:     0
    .args:
      - .address_space:  global
        .offset:         0
        .size:           8
        .value_kind:     global_buffer
      - .address_space:  global
        .offset:         8
        .size:           8
        .value_kind:     global_buffer
      - .offset:         16
        .size:           4
        .value_kind:     by_value
      - .offset:         24
        .size:           4
        .value_kind:     hidden_block_count_x
      - .offset:         28
        .size:           4
        .value_kind:     hidden_block_count_y
      - .offset:         32
        .size:           4
        .value_kind:     hidden_block_count_z
      - .offset:         36
        .size:           2
        .value_kind:     hidden_group_size_x
      - .offset:         38
        .size:           2
        .value_kind:     hidden_group_size_y
      - .offset:         40
        .size:           2
        .value_kind:     hidden_group_size_z
      - .offset:         42
        .size:           2
        .value_kind:     hidden_remainder_x
      - .offset:         44
        .size:           2
        .value_kind:     hidden_remainder_y
      - .offset:         46
        .size:           2
        .value_kind:     hidden_remainder_z
      - .offset:         64
        .size:           8
        .value_kind:     hidden_global_offset_x
      - .offset:         72
        .size:           8
        .value_kind:     hidden_global_offset_y
      - .offset:         80
        .size:           8
        .value_kind:     hidden_global_offset_z
      - .offset:         88
        .size:           2
        .value_kind:     hidden_grid_dims
    .group_segment_fixed_size: 16
    .kernarg_segment_align: 8
    .kernarg_segment_size: 280
    .language:       OpenCL C
    .language_version:
      - 2
      - 0
    .max_flat_workgroup_size: 256
    .name:           _Z6kernelI14inclusive_scanILN6hipcub18BlockScanAlgorithmE0EEfLj256ELj3ELj100EEvPKT0_PS4_S4_
    .private_segment_fixed_size: 0
    .sgpr_count:     35
    .sgpr_spill_count: 0
    .symbol:         _Z6kernelI14inclusive_scanILN6hipcub18BlockScanAlgorithmE0EEfLj256ELj3ELj100EEvPKT0_PS4_S4_.kd
    .uniform_work_group_size: 1
    .uses_dynamic_stack: false
    .vgpr_count:     16
    .vgpr_spill_count: 0
    .wavefront_size: 64
  - .agpr_count:     0
    .args:
      - .address_space:  global
        .offset:         0
        .size:           8
        .value_kind:     global_buffer
      - .address_space:  global
        .offset:         8
        .size:           8
        .value_kind:     global_buffer
      - .offset:         16
        .size:           4
        .value_kind:     by_value
      - .offset:         24
        .size:           4
        .value_kind:     hidden_block_count_x
      - .offset:         28
        .size:           4
        .value_kind:     hidden_block_count_y
      - .offset:         32
        .size:           4
        .value_kind:     hidden_block_count_z
      - .offset:         36
        .size:           2
        .value_kind:     hidden_group_size_x
      - .offset:         38
        .size:           2
        .value_kind:     hidden_group_size_y
      - .offset:         40
        .size:           2
        .value_kind:     hidden_group_size_z
      - .offset:         42
        .size:           2
        .value_kind:     hidden_remainder_x
      - .offset:         44
        .size:           2
        .value_kind:     hidden_remainder_y
      - .offset:         46
        .size:           2
        .value_kind:     hidden_remainder_z
      - .offset:         64
        .size:           8
        .value_kind:     hidden_global_offset_x
      - .offset:         72
        .size:           8
        .value_kind:     hidden_global_offset_y
      - .offset:         80
        .size:           8
        .value_kind:     hidden_global_offset_z
      - .offset:         88
        .size:           2
        .value_kind:     hidden_grid_dims
    .group_segment_fixed_size: 16
    .kernarg_segment_align: 8
    .kernarg_segment_size: 280
    .language:       OpenCL C
    .language_version:
      - 2
      - 0
    .max_flat_workgroup_size: 256
    .name:           _Z6kernelI14inclusive_scanILN6hipcub18BlockScanAlgorithmE0EEfLj256ELj4ELj100EEvPKT0_PS4_S4_
    .private_segment_fixed_size: 0
    .sgpr_count:     35
    .sgpr_spill_count: 0
    .symbol:         _Z6kernelI14inclusive_scanILN6hipcub18BlockScanAlgorithmE0EEfLj256ELj4ELj100EEvPKT0_PS4_S4_.kd
    .uniform_work_group_size: 1
    .uses_dynamic_stack: false
    .vgpr_count:     13
    .vgpr_spill_count: 0
    .wavefront_size: 64
  - .agpr_count:     0
    .args:
      - .address_space:  global
        .offset:         0
        .size:           8
        .value_kind:     global_buffer
      - .address_space:  global
        .offset:         8
        .size:           8
        .value_kind:     global_buffer
      - .offset:         16
        .size:           4
        .value_kind:     by_value
      - .offset:         24
        .size:           4
        .value_kind:     hidden_block_count_x
      - .offset:         28
        .size:           4
        .value_kind:     hidden_block_count_y
      - .offset:         32
        .size:           4
        .value_kind:     hidden_block_count_z
      - .offset:         36
        .size:           2
        .value_kind:     hidden_group_size_x
      - .offset:         38
        .size:           2
        .value_kind:     hidden_group_size_y
      - .offset:         40
        .size:           2
        .value_kind:     hidden_group_size_z
      - .offset:         42
        .size:           2
        .value_kind:     hidden_remainder_x
      - .offset:         44
        .size:           2
        .value_kind:     hidden_remainder_y
      - .offset:         46
        .size:           2
        .value_kind:     hidden_remainder_z
      - .offset:         64
        .size:           8
        .value_kind:     hidden_global_offset_x
      - .offset:         72
        .size:           8
        .value_kind:     hidden_global_offset_y
      - .offset:         80
        .size:           8
        .value_kind:     hidden_global_offset_z
      - .offset:         88
        .size:           2
        .value_kind:     hidden_grid_dims
    .group_segment_fixed_size: 16
    .kernarg_segment_align: 8
    .kernarg_segment_size: 280
    .language:       OpenCL C
    .language_version:
      - 2
      - 0
    .max_flat_workgroup_size: 256
    .name:           _Z6kernelI14inclusive_scanILN6hipcub18BlockScanAlgorithmE0EEfLj256ELj8ELj100EEvPKT0_PS4_S4_
    .private_segment_fixed_size: 0
    .sgpr_count:     35
    .sgpr_spill_count: 0
    .symbol:         _Z6kernelI14inclusive_scanILN6hipcub18BlockScanAlgorithmE0EEfLj256ELj8ELj100EEvPKT0_PS4_S4_.kd
    .uniform_work_group_size: 1
    .uses_dynamic_stack: false
    .vgpr_count:     17
    .vgpr_spill_count: 0
    .wavefront_size: 64
  - .agpr_count:     0
    .args:
      - .address_space:  global
        .offset:         0
        .size:           8
        .value_kind:     global_buffer
      - .address_space:  global
        .offset:         8
        .size:           8
        .value_kind:     global_buffer
      - .offset:         16
        .size:           4
        .value_kind:     by_value
      - .offset:         24
        .size:           4
        .value_kind:     hidden_block_count_x
      - .offset:         28
        .size:           4
        .value_kind:     hidden_block_count_y
      - .offset:         32
        .size:           4
        .value_kind:     hidden_block_count_z
      - .offset:         36
        .size:           2
        .value_kind:     hidden_group_size_x
      - .offset:         38
        .size:           2
        .value_kind:     hidden_group_size_y
      - .offset:         40
        .size:           2
        .value_kind:     hidden_group_size_z
      - .offset:         42
        .size:           2
        .value_kind:     hidden_remainder_x
      - .offset:         44
        .size:           2
        .value_kind:     hidden_remainder_y
      - .offset:         46
        .size:           2
        .value_kind:     hidden_remainder_z
      - .offset:         64
        .size:           8
        .value_kind:     hidden_global_offset_x
      - .offset:         72
        .size:           8
        .value_kind:     hidden_global_offset_y
      - .offset:         80
        .size:           8
        .value_kind:     hidden_global_offset_z
      - .offset:         88
        .size:           2
        .value_kind:     hidden_grid_dims
    .group_segment_fixed_size: 16
    .kernarg_segment_align: 8
    .kernarg_segment_size: 280
    .language:       OpenCL C
    .language_version:
      - 2
      - 0
    .max_flat_workgroup_size: 256
    .name:           _Z6kernelI14inclusive_scanILN6hipcub18BlockScanAlgorithmE0EEfLj256ELj11ELj100EEvPKT0_PS4_S4_
    .private_segment_fixed_size: 0
    .sgpr_count:     35
    .sgpr_spill_count: 0
    .symbol:         _Z6kernelI14inclusive_scanILN6hipcub18BlockScanAlgorithmE0EEfLj256ELj11ELj100EEvPKT0_PS4_S4_.kd
    .uniform_work_group_size: 1
    .uses_dynamic_stack: false
    .vgpr_count:     42
    .vgpr_spill_count: 0
    .wavefront_size: 64
  - .agpr_count:     0
    .args:
      - .address_space:  global
        .offset:         0
        .size:           8
        .value_kind:     global_buffer
      - .address_space:  global
        .offset:         8
        .size:           8
        .value_kind:     global_buffer
      - .offset:         16
        .size:           4
        .value_kind:     by_value
      - .offset:         24
        .size:           4
        .value_kind:     hidden_block_count_x
      - .offset:         28
        .size:           4
        .value_kind:     hidden_block_count_y
      - .offset:         32
        .size:           4
        .value_kind:     hidden_block_count_z
      - .offset:         36
        .size:           2
        .value_kind:     hidden_group_size_x
      - .offset:         38
        .size:           2
        .value_kind:     hidden_group_size_y
      - .offset:         40
        .size:           2
        .value_kind:     hidden_group_size_z
      - .offset:         42
        .size:           2
        .value_kind:     hidden_remainder_x
      - .offset:         44
        .size:           2
        .value_kind:     hidden_remainder_y
      - .offset:         46
        .size:           2
        .value_kind:     hidden_remainder_z
      - .offset:         64
        .size:           8
        .value_kind:     hidden_global_offset_x
      - .offset:         72
        .size:           8
        .value_kind:     hidden_global_offset_y
      - .offset:         80
        .size:           8
        .value_kind:     hidden_global_offset_z
      - .offset:         88
        .size:           2
        .value_kind:     hidden_grid_dims
    .group_segment_fixed_size: 16
    .kernarg_segment_align: 8
    .kernarg_segment_size: 280
    .language:       OpenCL C
    .language_version:
      - 2
      - 0
    .max_flat_workgroup_size: 256
    .name:           _Z6kernelI14inclusive_scanILN6hipcub18BlockScanAlgorithmE0EEfLj256ELj16ELj100EEvPKT0_PS4_S4_
    .private_segment_fixed_size: 0
    .sgpr_count:     35
    .sgpr_spill_count: 0
    .symbol:         _Z6kernelI14inclusive_scanILN6hipcub18BlockScanAlgorithmE0EEfLj256ELj16ELj100EEvPKT0_PS4_S4_.kd
    .uniform_work_group_size: 1
    .uses_dynamic_stack: false
    .vgpr_count:     25
    .vgpr_spill_count: 0
    .wavefront_size: 64
  - .agpr_count:     0
    .args:
      - .address_space:  global
        .offset:         0
        .size:           8
        .value_kind:     global_buffer
      - .address_space:  global
        .offset:         8
        .size:           8
        .value_kind:     global_buffer
      - .offset:         16
        .size:           8
        .value_kind:     by_value
      - .offset:         24
        .size:           4
        .value_kind:     hidden_block_count_x
      - .offset:         28
        .size:           4
        .value_kind:     hidden_block_count_y
      - .offset:         32
        .size:           4
        .value_kind:     hidden_block_count_z
      - .offset:         36
        .size:           2
        .value_kind:     hidden_group_size_x
      - .offset:         38
        .size:           2
        .value_kind:     hidden_group_size_y
      - .offset:         40
        .size:           2
        .value_kind:     hidden_group_size_z
      - .offset:         42
        .size:           2
        .value_kind:     hidden_remainder_x
      - .offset:         44
        .size:           2
        .value_kind:     hidden_remainder_y
      - .offset:         46
        .size:           2
        .value_kind:     hidden_remainder_z
      - .offset:         64
        .size:           8
        .value_kind:     hidden_global_offset_x
      - .offset:         72
        .size:           8
        .value_kind:     hidden_global_offset_y
      - .offset:         80
        .size:           8
        .value_kind:     hidden_global_offset_z
      - .offset:         88
        .size:           2
        .value_kind:     hidden_grid_dims
    .group_segment_fixed_size: 32
    .kernarg_segment_align: 8
    .kernarg_segment_size: 280
    .language:       OpenCL C
    .language_version:
      - 2
      - 0
    .max_flat_workgroup_size: 256
    .name:           _Z6kernelI14inclusive_scanILN6hipcub18BlockScanAlgorithmE0EEdLj256ELj1ELj100EEvPKT0_PS4_S4_
    .private_segment_fixed_size: 0
    .sgpr_count:     33
    .sgpr_spill_count: 0
    .symbol:         _Z6kernelI14inclusive_scanILN6hipcub18BlockScanAlgorithmE0EEdLj256ELj1ELj100EEvPKT0_PS4_S4_.kd
    .uniform_work_group_size: 1
    .uses_dynamic_stack: false
    .vgpr_count:     12
    .vgpr_spill_count: 0
    .wavefront_size: 64
  - .agpr_count:     0
    .args:
      - .address_space:  global
        .offset:         0
        .size:           8
        .value_kind:     global_buffer
      - .address_space:  global
        .offset:         8
        .size:           8
        .value_kind:     global_buffer
      - .offset:         16
        .size:           8
        .value_kind:     by_value
      - .offset:         24
        .size:           4
        .value_kind:     hidden_block_count_x
      - .offset:         28
        .size:           4
        .value_kind:     hidden_block_count_y
      - .offset:         32
        .size:           4
        .value_kind:     hidden_block_count_z
      - .offset:         36
        .size:           2
        .value_kind:     hidden_group_size_x
      - .offset:         38
        .size:           2
        .value_kind:     hidden_group_size_y
      - .offset:         40
        .size:           2
        .value_kind:     hidden_group_size_z
      - .offset:         42
        .size:           2
        .value_kind:     hidden_remainder_x
      - .offset:         44
        .size:           2
        .value_kind:     hidden_remainder_y
      - .offset:         46
        .size:           2
        .value_kind:     hidden_remainder_z
      - .offset:         64
        .size:           8
        .value_kind:     hidden_global_offset_x
      - .offset:         72
        .size:           8
        .value_kind:     hidden_global_offset_y
      - .offset:         80
        .size:           8
        .value_kind:     hidden_global_offset_z
      - .offset:         88
        .size:           2
        .value_kind:     hidden_grid_dims
    .group_segment_fixed_size: 32
    .kernarg_segment_align: 8
    .kernarg_segment_size: 280
    .language:       OpenCL C
    .language_version:
      - 2
      - 0
    .max_flat_workgroup_size: 256
    .name:           _Z6kernelI14inclusive_scanILN6hipcub18BlockScanAlgorithmE0EEdLj256ELj3ELj100EEvPKT0_PS4_S4_
    .private_segment_fixed_size: 0
    .sgpr_count:     35
    .sgpr_spill_count: 0
    .symbol:         _Z6kernelI14inclusive_scanILN6hipcub18BlockScanAlgorithmE0EEdLj256ELj3ELj100EEvPKT0_PS4_S4_.kd
    .uniform_work_group_size: 1
    .uses_dynamic_stack: false
    .vgpr_count:     22
    .vgpr_spill_count: 0
    .wavefront_size: 64
  - .agpr_count:     0
    .args:
      - .address_space:  global
        .offset:         0
        .size:           8
        .value_kind:     global_buffer
      - .address_space:  global
        .offset:         8
        .size:           8
        .value_kind:     global_buffer
      - .offset:         16
        .size:           8
        .value_kind:     by_value
      - .offset:         24
        .size:           4
        .value_kind:     hidden_block_count_x
      - .offset:         28
        .size:           4
        .value_kind:     hidden_block_count_y
      - .offset:         32
        .size:           4
        .value_kind:     hidden_block_count_z
      - .offset:         36
        .size:           2
        .value_kind:     hidden_group_size_x
      - .offset:         38
        .size:           2
        .value_kind:     hidden_group_size_y
      - .offset:         40
        .size:           2
        .value_kind:     hidden_group_size_z
      - .offset:         42
        .size:           2
        .value_kind:     hidden_remainder_x
      - .offset:         44
        .size:           2
        .value_kind:     hidden_remainder_y
      - .offset:         46
        .size:           2
        .value_kind:     hidden_remainder_z
      - .offset:         64
        .size:           8
        .value_kind:     hidden_global_offset_x
      - .offset:         72
        .size:           8
        .value_kind:     hidden_global_offset_y
      - .offset:         80
        .size:           8
        .value_kind:     hidden_global_offset_z
      - .offset:         88
        .size:           2
        .value_kind:     hidden_grid_dims
    .group_segment_fixed_size: 32
    .kernarg_segment_align: 8
    .kernarg_segment_size: 280
    .language:       OpenCL C
    .language_version:
      - 2
      - 0
    .max_flat_workgroup_size: 256
    .name:           _Z6kernelI14inclusive_scanILN6hipcub18BlockScanAlgorithmE0EEdLj256ELj4ELj100EEvPKT0_PS4_S4_
    .private_segment_fixed_size: 0
    .sgpr_count:     35
    .sgpr_spill_count: 0
    .symbol:         _Z6kernelI14inclusive_scanILN6hipcub18BlockScanAlgorithmE0EEdLj256ELj4ELj100EEvPKT0_PS4_S4_.kd
    .uniform_work_group_size: 1
    .uses_dynamic_stack: false
    .vgpr_count:     20
    .vgpr_spill_count: 0
    .wavefront_size: 64
  - .agpr_count:     0
    .args:
      - .address_space:  global
        .offset:         0
        .size:           8
        .value_kind:     global_buffer
      - .address_space:  global
        .offset:         8
        .size:           8
        .value_kind:     global_buffer
      - .offset:         16
        .size:           8
        .value_kind:     by_value
      - .offset:         24
        .size:           4
        .value_kind:     hidden_block_count_x
      - .offset:         28
        .size:           4
        .value_kind:     hidden_block_count_y
      - .offset:         32
        .size:           4
        .value_kind:     hidden_block_count_z
      - .offset:         36
        .size:           2
        .value_kind:     hidden_group_size_x
      - .offset:         38
        .size:           2
        .value_kind:     hidden_group_size_y
      - .offset:         40
        .size:           2
        .value_kind:     hidden_group_size_z
      - .offset:         42
        .size:           2
        .value_kind:     hidden_remainder_x
      - .offset:         44
        .size:           2
        .value_kind:     hidden_remainder_y
      - .offset:         46
        .size:           2
        .value_kind:     hidden_remainder_z
      - .offset:         64
        .size:           8
        .value_kind:     hidden_global_offset_x
      - .offset:         72
        .size:           8
        .value_kind:     hidden_global_offset_y
      - .offset:         80
        .size:           8
        .value_kind:     hidden_global_offset_z
      - .offset:         88
        .size:           2
        .value_kind:     hidden_grid_dims
    .group_segment_fixed_size: 32
    .kernarg_segment_align: 8
    .kernarg_segment_size: 280
    .language:       OpenCL C
    .language_version:
      - 2
      - 0
    .max_flat_workgroup_size: 256
    .name:           _Z6kernelI14inclusive_scanILN6hipcub18BlockScanAlgorithmE0EEdLj256ELj8ELj100EEvPKT0_PS4_S4_
    .private_segment_fixed_size: 0
    .sgpr_count:     35
    .sgpr_spill_count: 0
    .symbol:         _Z6kernelI14inclusive_scanILN6hipcub18BlockScanAlgorithmE0EEdLj256ELj8ELj100EEvPKT0_PS4_S4_.kd
    .uniform_work_group_size: 1
    .uses_dynamic_stack: false
    .vgpr_count:     28
    .vgpr_spill_count: 0
    .wavefront_size: 64
  - .agpr_count:     0
    .args:
      - .address_space:  global
        .offset:         0
        .size:           8
        .value_kind:     global_buffer
      - .address_space:  global
        .offset:         8
        .size:           8
        .value_kind:     global_buffer
      - .offset:         16
        .size:           8
        .value_kind:     by_value
      - .offset:         24
        .size:           4
        .value_kind:     hidden_block_count_x
      - .offset:         28
        .size:           4
        .value_kind:     hidden_block_count_y
      - .offset:         32
        .size:           4
        .value_kind:     hidden_block_count_z
      - .offset:         36
        .size:           2
        .value_kind:     hidden_group_size_x
      - .offset:         38
        .size:           2
        .value_kind:     hidden_group_size_y
      - .offset:         40
        .size:           2
        .value_kind:     hidden_group_size_z
      - .offset:         42
        .size:           2
        .value_kind:     hidden_remainder_x
      - .offset:         44
        .size:           2
        .value_kind:     hidden_remainder_y
      - .offset:         46
        .size:           2
        .value_kind:     hidden_remainder_z
      - .offset:         64
        .size:           8
        .value_kind:     hidden_global_offset_x
      - .offset:         72
        .size:           8
        .value_kind:     hidden_global_offset_y
      - .offset:         80
        .size:           8
        .value_kind:     hidden_global_offset_z
      - .offset:         88
        .size:           2
        .value_kind:     hidden_grid_dims
    .group_segment_fixed_size: 32
    .kernarg_segment_align: 8
    .kernarg_segment_size: 280
    .language:       OpenCL C
    .language_version:
      - 2
      - 0
    .max_flat_workgroup_size: 256
    .name:           _Z6kernelI14inclusive_scanILN6hipcub18BlockScanAlgorithmE0EEdLj256ELj11ELj100EEvPKT0_PS4_S4_
    .private_segment_fixed_size: 0
    .sgpr_count:     35
    .sgpr_spill_count: 0
    .symbol:         _Z6kernelI14inclusive_scanILN6hipcub18BlockScanAlgorithmE0EEdLj256ELj11ELj100EEvPKT0_PS4_S4_.kd
    .uniform_work_group_size: 1
    .uses_dynamic_stack: false
    .vgpr_count:     54
    .vgpr_spill_count: 0
    .wavefront_size: 64
  - .agpr_count:     0
    .args:
      - .address_space:  global
        .offset:         0
        .size:           8
        .value_kind:     global_buffer
      - .address_space:  global
        .offset:         8
        .size:           8
        .value_kind:     global_buffer
      - .offset:         16
        .size:           8
        .value_kind:     by_value
      - .offset:         24
        .size:           4
        .value_kind:     hidden_block_count_x
      - .offset:         28
        .size:           4
        .value_kind:     hidden_block_count_y
      - .offset:         32
        .size:           4
        .value_kind:     hidden_block_count_z
      - .offset:         36
        .size:           2
        .value_kind:     hidden_group_size_x
      - .offset:         38
        .size:           2
        .value_kind:     hidden_group_size_y
      - .offset:         40
        .size:           2
        .value_kind:     hidden_group_size_z
      - .offset:         42
        .size:           2
        .value_kind:     hidden_remainder_x
      - .offset:         44
        .size:           2
        .value_kind:     hidden_remainder_y
      - .offset:         46
        .size:           2
        .value_kind:     hidden_remainder_z
      - .offset:         64
        .size:           8
        .value_kind:     hidden_global_offset_x
      - .offset:         72
        .size:           8
        .value_kind:     hidden_global_offset_y
      - .offset:         80
        .size:           8
        .value_kind:     hidden_global_offset_z
      - .offset:         88
        .size:           2
        .value_kind:     hidden_grid_dims
    .group_segment_fixed_size: 32
    .kernarg_segment_align: 8
    .kernarg_segment_size: 280
    .language:       OpenCL C
    .language_version:
      - 2
      - 0
    .max_flat_workgroup_size: 256
    .name:           _Z6kernelI14inclusive_scanILN6hipcub18BlockScanAlgorithmE0EEdLj256ELj16ELj100EEvPKT0_PS4_S4_
    .private_segment_fixed_size: 0
    .sgpr_count:     35
    .sgpr_spill_count: 0
    .symbol:         _Z6kernelI14inclusive_scanILN6hipcub18BlockScanAlgorithmE0EEdLj256ELj16ELj100EEvPKT0_PS4_S4_.kd
    .uniform_work_group_size: 1
    .uses_dynamic_stack: false
    .vgpr_count:     44
    .vgpr_spill_count: 0
    .wavefront_size: 64
  - .agpr_count:     0
    .args:
      - .address_space:  global
        .offset:         0
        .size:           8
        .value_kind:     global_buffer
      - .address_space:  global
        .offset:         8
        .size:           8
        .value_kind:     global_buffer
      - .offset:         16
        .size:           1
        .value_kind:     by_value
      - .offset:         24
        .size:           4
        .value_kind:     hidden_block_count_x
      - .offset:         28
        .size:           4
        .value_kind:     hidden_block_count_y
      - .offset:         32
        .size:           4
        .value_kind:     hidden_block_count_z
      - .offset:         36
        .size:           2
        .value_kind:     hidden_group_size_x
      - .offset:         38
        .size:           2
        .value_kind:     hidden_group_size_y
      - .offset:         40
        .size:           2
        .value_kind:     hidden_group_size_z
      - .offset:         42
        .size:           2
        .value_kind:     hidden_remainder_x
      - .offset:         44
        .size:           2
        .value_kind:     hidden_remainder_y
      - .offset:         46
        .size:           2
        .value_kind:     hidden_remainder_z
      - .offset:         64
        .size:           8
        .value_kind:     hidden_global_offset_x
      - .offset:         72
        .size:           8
        .value_kind:     hidden_global_offset_y
      - .offset:         80
        .size:           8
        .value_kind:     hidden_global_offset_z
      - .offset:         88
        .size:           2
        .value_kind:     hidden_grid_dims
    .group_segment_fixed_size: 4
    .kernarg_segment_align: 8
    .kernarg_segment_size: 280
    .language:       OpenCL C
    .language_version:
      - 2
      - 0
    .max_flat_workgroup_size: 256
    .name:           _Z6kernelI14inclusive_scanILN6hipcub18BlockScanAlgorithmE0EEhLj256ELj1ELj100EEvPKT0_PS4_S4_
    .private_segment_fixed_size: 0
    .sgpr_count:     31
    .sgpr_spill_count: 0
    .symbol:         _Z6kernelI14inclusive_scanILN6hipcub18BlockScanAlgorithmE0EEhLj256ELj1ELj100EEvPKT0_PS4_S4_.kd
    .uniform_work_group_size: 1
    .uses_dynamic_stack: false
    .vgpr_count:     8
    .vgpr_spill_count: 0
    .wavefront_size: 64
  - .agpr_count:     0
    .args:
      - .address_space:  global
        .offset:         0
        .size:           8
        .value_kind:     global_buffer
      - .address_space:  global
        .offset:         8
        .size:           8
        .value_kind:     global_buffer
      - .offset:         16
        .size:           1
        .value_kind:     by_value
      - .offset:         24
        .size:           4
        .value_kind:     hidden_block_count_x
      - .offset:         28
        .size:           4
        .value_kind:     hidden_block_count_y
      - .offset:         32
        .size:           4
        .value_kind:     hidden_block_count_z
      - .offset:         36
        .size:           2
        .value_kind:     hidden_group_size_x
      - .offset:         38
        .size:           2
        .value_kind:     hidden_group_size_y
      - .offset:         40
        .size:           2
        .value_kind:     hidden_group_size_z
      - .offset:         42
        .size:           2
        .value_kind:     hidden_remainder_x
      - .offset:         44
        .size:           2
        .value_kind:     hidden_remainder_y
      - .offset:         46
        .size:           2
        .value_kind:     hidden_remainder_z
      - .offset:         64
        .size:           8
        .value_kind:     hidden_global_offset_x
      - .offset:         72
        .size:           8
        .value_kind:     hidden_global_offset_y
      - .offset:         80
        .size:           8
        .value_kind:     hidden_global_offset_z
      - .offset:         88
        .size:           2
        .value_kind:     hidden_grid_dims
    .group_segment_fixed_size: 4
    .kernarg_segment_align: 8
    .kernarg_segment_size: 280
    .language:       OpenCL C
    .language_version:
      - 2
      - 0
    .max_flat_workgroup_size: 256
    .name:           _Z6kernelI14inclusive_scanILN6hipcub18BlockScanAlgorithmE0EEhLj256ELj3ELj100EEvPKT0_PS4_S4_
    .private_segment_fixed_size: 0
    .sgpr_count:     35
    .sgpr_spill_count: 0
    .symbol:         _Z6kernelI14inclusive_scanILN6hipcub18BlockScanAlgorithmE0EEhLj256ELj3ELj100EEvPKT0_PS4_S4_.kd
    .uniform_work_group_size: 1
    .uses_dynamic_stack: false
    .vgpr_count:     18
    .vgpr_spill_count: 0
    .wavefront_size: 64
  - .agpr_count:     0
    .args:
      - .address_space:  global
        .offset:         0
        .size:           8
        .value_kind:     global_buffer
      - .address_space:  global
        .offset:         8
        .size:           8
        .value_kind:     global_buffer
      - .offset:         16
        .size:           1
        .value_kind:     by_value
      - .offset:         24
        .size:           4
        .value_kind:     hidden_block_count_x
      - .offset:         28
        .size:           4
        .value_kind:     hidden_block_count_y
      - .offset:         32
        .size:           4
        .value_kind:     hidden_block_count_z
      - .offset:         36
        .size:           2
        .value_kind:     hidden_group_size_x
      - .offset:         38
        .size:           2
        .value_kind:     hidden_group_size_y
      - .offset:         40
        .size:           2
        .value_kind:     hidden_group_size_z
      - .offset:         42
        .size:           2
        .value_kind:     hidden_remainder_x
      - .offset:         44
        .size:           2
        .value_kind:     hidden_remainder_y
      - .offset:         46
        .size:           2
        .value_kind:     hidden_remainder_z
      - .offset:         64
        .size:           8
        .value_kind:     hidden_global_offset_x
      - .offset:         72
        .size:           8
        .value_kind:     hidden_global_offset_y
      - .offset:         80
        .size:           8
        .value_kind:     hidden_global_offset_z
      - .offset:         88
        .size:           2
        .value_kind:     hidden_grid_dims
    .group_segment_fixed_size: 4
    .kernarg_segment_align: 8
    .kernarg_segment_size: 280
    .language:       OpenCL C
    .language_version:
      - 2
      - 0
    .max_flat_workgroup_size: 256
    .name:           _Z6kernelI14inclusive_scanILN6hipcub18BlockScanAlgorithmE0EEhLj256ELj4ELj100EEvPKT0_PS4_S4_
    .private_segment_fixed_size: 0
    .sgpr_count:     35
    .sgpr_spill_count: 0
    .symbol:         _Z6kernelI14inclusive_scanILN6hipcub18BlockScanAlgorithmE0EEhLj256ELj4ELj100EEvPKT0_PS4_S4_.kd
    .uniform_work_group_size: 1
    .uses_dynamic_stack: false
    .vgpr_count:     11
    .vgpr_spill_count: 0
    .wavefront_size: 64
  - .agpr_count:     0
    .args:
      - .address_space:  global
        .offset:         0
        .size:           8
        .value_kind:     global_buffer
      - .address_space:  global
        .offset:         8
        .size:           8
        .value_kind:     global_buffer
      - .offset:         16
        .size:           1
        .value_kind:     by_value
      - .offset:         24
        .size:           4
        .value_kind:     hidden_block_count_x
      - .offset:         28
        .size:           4
        .value_kind:     hidden_block_count_y
      - .offset:         32
        .size:           4
        .value_kind:     hidden_block_count_z
      - .offset:         36
        .size:           2
        .value_kind:     hidden_group_size_x
      - .offset:         38
        .size:           2
        .value_kind:     hidden_group_size_y
      - .offset:         40
        .size:           2
        .value_kind:     hidden_group_size_z
      - .offset:         42
        .size:           2
        .value_kind:     hidden_remainder_x
      - .offset:         44
        .size:           2
        .value_kind:     hidden_remainder_y
      - .offset:         46
        .size:           2
        .value_kind:     hidden_remainder_z
      - .offset:         64
        .size:           8
        .value_kind:     hidden_global_offset_x
      - .offset:         72
        .size:           8
        .value_kind:     hidden_global_offset_y
      - .offset:         80
        .size:           8
        .value_kind:     hidden_global_offset_z
      - .offset:         88
        .size:           2
        .value_kind:     hidden_grid_dims
    .group_segment_fixed_size: 4
    .kernarg_segment_align: 8
    .kernarg_segment_size: 280
    .language:       OpenCL C
    .language_version:
      - 2
      - 0
    .max_flat_workgroup_size: 256
    .name:           _Z6kernelI14inclusive_scanILN6hipcub18BlockScanAlgorithmE0EEhLj256ELj8ELj100EEvPKT0_PS4_S4_
    .private_segment_fixed_size: 0
    .sgpr_count:     35
    .sgpr_spill_count: 0
    .symbol:         _Z6kernelI14inclusive_scanILN6hipcub18BlockScanAlgorithmE0EEhLj256ELj8ELj100EEvPKT0_PS4_S4_.kd
    .uniform_work_group_size: 1
    .uses_dynamic_stack: false
    .vgpr_count:     13
    .vgpr_spill_count: 0
    .wavefront_size: 64
  - .agpr_count:     0
    .args:
      - .address_space:  global
        .offset:         0
        .size:           8
        .value_kind:     global_buffer
      - .address_space:  global
        .offset:         8
        .size:           8
        .value_kind:     global_buffer
      - .offset:         16
        .size:           1
        .value_kind:     by_value
      - .offset:         24
        .size:           4
        .value_kind:     hidden_block_count_x
      - .offset:         28
        .size:           4
        .value_kind:     hidden_block_count_y
      - .offset:         32
        .size:           4
        .value_kind:     hidden_block_count_z
      - .offset:         36
        .size:           2
        .value_kind:     hidden_group_size_x
      - .offset:         38
        .size:           2
        .value_kind:     hidden_group_size_y
      - .offset:         40
        .size:           2
        .value_kind:     hidden_group_size_z
      - .offset:         42
        .size:           2
        .value_kind:     hidden_remainder_x
      - .offset:         44
        .size:           2
        .value_kind:     hidden_remainder_y
      - .offset:         46
        .size:           2
        .value_kind:     hidden_remainder_z
      - .offset:         64
        .size:           8
        .value_kind:     hidden_global_offset_x
      - .offset:         72
        .size:           8
        .value_kind:     hidden_global_offset_y
      - .offset:         80
        .size:           8
        .value_kind:     hidden_global_offset_z
      - .offset:         88
        .size:           2
        .value_kind:     hidden_grid_dims
    .group_segment_fixed_size: 4
    .kernarg_segment_align: 8
    .kernarg_segment_size: 280
    .language:       OpenCL C
    .language_version:
      - 2
      - 0
    .max_flat_workgroup_size: 256
    .name:           _Z6kernelI14inclusive_scanILN6hipcub18BlockScanAlgorithmE0EEhLj256ELj11ELj100EEvPKT0_PS4_S4_
    .private_segment_fixed_size: 0
    .sgpr_count:     35
    .sgpr_spill_count: 0
    .symbol:         _Z6kernelI14inclusive_scanILN6hipcub18BlockScanAlgorithmE0EEhLj256ELj11ELj100EEvPKT0_PS4_S4_.kd
    .uniform_work_group_size: 1
    .uses_dynamic_stack: false
    .vgpr_count:     42
    .vgpr_spill_count: 0
    .wavefront_size: 64
  - .agpr_count:     0
    .args:
      - .address_space:  global
        .offset:         0
        .size:           8
        .value_kind:     global_buffer
      - .address_space:  global
        .offset:         8
        .size:           8
        .value_kind:     global_buffer
      - .offset:         16
        .size:           1
        .value_kind:     by_value
      - .offset:         24
        .size:           4
        .value_kind:     hidden_block_count_x
      - .offset:         28
        .size:           4
        .value_kind:     hidden_block_count_y
      - .offset:         32
        .size:           4
        .value_kind:     hidden_block_count_z
      - .offset:         36
        .size:           2
        .value_kind:     hidden_group_size_x
      - .offset:         38
        .size:           2
        .value_kind:     hidden_group_size_y
      - .offset:         40
        .size:           2
        .value_kind:     hidden_group_size_z
      - .offset:         42
        .size:           2
        .value_kind:     hidden_remainder_x
      - .offset:         44
        .size:           2
        .value_kind:     hidden_remainder_y
      - .offset:         46
        .size:           2
        .value_kind:     hidden_remainder_z
      - .offset:         64
        .size:           8
        .value_kind:     hidden_global_offset_x
      - .offset:         72
        .size:           8
        .value_kind:     hidden_global_offset_y
      - .offset:         80
        .size:           8
        .value_kind:     hidden_global_offset_z
      - .offset:         88
        .size:           2
        .value_kind:     hidden_grid_dims
    .group_segment_fixed_size: 4
    .kernarg_segment_align: 8
    .kernarg_segment_size: 280
    .language:       OpenCL C
    .language_version:
      - 2
      - 0
    .max_flat_workgroup_size: 256
    .name:           _Z6kernelI14inclusive_scanILN6hipcub18BlockScanAlgorithmE0EEhLj256ELj16ELj100EEvPKT0_PS4_S4_
    .private_segment_fixed_size: 0
    .sgpr_count:     35
    .sgpr_spill_count: 0
    .symbol:         _Z6kernelI14inclusive_scanILN6hipcub18BlockScanAlgorithmE0EEhLj256ELj16ELj100EEvPKT0_PS4_S4_.kd
    .uniform_work_group_size: 1
    .uses_dynamic_stack: false
    .vgpr_count:     23
    .vgpr_spill_count: 0
    .wavefront_size: 64
  - .agpr_count:     0
    .args:
      - .address_space:  global
        .offset:         0
        .size:           8
        .value_kind:     global_buffer
      - .address_space:  global
        .offset:         8
        .size:           8
        .value_kind:     global_buffer
      - .offset:         16
        .size:           8
        .value_kind:     by_value
      - .offset:         24
        .size:           4
        .value_kind:     hidden_block_count_x
      - .offset:         28
        .size:           4
        .value_kind:     hidden_block_count_y
      - .offset:         32
        .size:           4
        .value_kind:     hidden_block_count_z
      - .offset:         36
        .size:           2
        .value_kind:     hidden_group_size_x
      - .offset:         38
        .size:           2
        .value_kind:     hidden_group_size_y
      - .offset:         40
        .size:           2
        .value_kind:     hidden_group_size_z
      - .offset:         42
        .size:           2
        .value_kind:     hidden_remainder_x
      - .offset:         44
        .size:           2
        .value_kind:     hidden_remainder_y
      - .offset:         46
        .size:           2
        .value_kind:     hidden_remainder_z
      - .offset:         64
        .size:           8
        .value_kind:     hidden_global_offset_x
      - .offset:         72
        .size:           8
        .value_kind:     hidden_global_offset_y
      - .offset:         80
        .size:           8
        .value_kind:     hidden_global_offset_z
      - .offset:         88
        .size:           2
        .value_kind:     hidden_grid_dims
    .group_segment_fixed_size: 32
    .kernarg_segment_align: 8
    .kernarg_segment_size: 280
    .language:       OpenCL C
    .language_version:
      - 2
      - 0
    .max_flat_workgroup_size: 256
    .name:           _Z6kernelI14inclusive_scanILN6hipcub18BlockScanAlgorithmE0EEN15benchmark_utils11custom_typeIffEELj256ELj1ELj100EEvPKT0_PS7_S7_
    .private_segment_fixed_size: 0
    .sgpr_count:     31
    .sgpr_spill_count: 0
    .symbol:         _Z6kernelI14inclusive_scanILN6hipcub18BlockScanAlgorithmE0EEN15benchmark_utils11custom_typeIffEELj256ELj1ELj100EEvPKT0_PS7_S7_.kd
    .uniform_work_group_size: 1
    .uses_dynamic_stack: false
    .vgpr_count:     14
    .vgpr_spill_count: 0
    .wavefront_size: 64
  - .agpr_count:     0
    .args:
      - .address_space:  global
        .offset:         0
        .size:           8
        .value_kind:     global_buffer
      - .address_space:  global
        .offset:         8
        .size:           8
        .value_kind:     global_buffer
      - .offset:         16
        .size:           8
        .value_kind:     by_value
      - .offset:         24
        .size:           4
        .value_kind:     hidden_block_count_x
      - .offset:         28
        .size:           4
        .value_kind:     hidden_block_count_y
      - .offset:         32
        .size:           4
        .value_kind:     hidden_block_count_z
      - .offset:         36
        .size:           2
        .value_kind:     hidden_group_size_x
      - .offset:         38
        .size:           2
        .value_kind:     hidden_group_size_y
      - .offset:         40
        .size:           2
        .value_kind:     hidden_group_size_z
      - .offset:         42
        .size:           2
        .value_kind:     hidden_remainder_x
      - .offset:         44
        .size:           2
        .value_kind:     hidden_remainder_y
      - .offset:         46
        .size:           2
        .value_kind:     hidden_remainder_z
      - .offset:         64
        .size:           8
        .value_kind:     hidden_global_offset_x
      - .offset:         72
        .size:           8
        .value_kind:     hidden_global_offset_y
      - .offset:         80
        .size:           8
        .value_kind:     hidden_global_offset_z
      - .offset:         88
        .size:           2
        .value_kind:     hidden_grid_dims
    .group_segment_fixed_size: 32
    .kernarg_segment_align: 8
    .kernarg_segment_size: 280
    .language:       OpenCL C
    .language_version:
      - 2
      - 0
    .max_flat_workgroup_size: 256
    .name:           _Z6kernelI14inclusive_scanILN6hipcub18BlockScanAlgorithmE0EEN15benchmark_utils11custom_typeIffEELj256ELj4ELj100EEvPKT0_PS7_S7_
    .private_segment_fixed_size: 0
    .sgpr_count:     35
    .sgpr_spill_count: 0
    .symbol:         _Z6kernelI14inclusive_scanILN6hipcub18BlockScanAlgorithmE0EEN15benchmark_utils11custom_typeIffEELj256ELj4ELj100EEvPKT0_PS7_S7_.kd
    .uniform_work_group_size: 1
    .uses_dynamic_stack: false
    .vgpr_count:     28
    .vgpr_spill_count: 0
    .wavefront_size: 64
  - .agpr_count:     0
    .args:
      - .address_space:  global
        .offset:         0
        .size:           8
        .value_kind:     global_buffer
      - .address_space:  global
        .offset:         8
        .size:           8
        .value_kind:     global_buffer
      - .offset:         16
        .size:           8
        .value_kind:     by_value
      - .offset:         24
        .size:           4
        .value_kind:     hidden_block_count_x
      - .offset:         28
        .size:           4
        .value_kind:     hidden_block_count_y
      - .offset:         32
        .size:           4
        .value_kind:     hidden_block_count_z
      - .offset:         36
        .size:           2
        .value_kind:     hidden_group_size_x
      - .offset:         38
        .size:           2
        .value_kind:     hidden_group_size_y
      - .offset:         40
        .size:           2
        .value_kind:     hidden_group_size_z
      - .offset:         42
        .size:           2
        .value_kind:     hidden_remainder_x
      - .offset:         44
        .size:           2
        .value_kind:     hidden_remainder_y
      - .offset:         46
        .size:           2
        .value_kind:     hidden_remainder_z
      - .offset:         64
        .size:           8
        .value_kind:     hidden_global_offset_x
      - .offset:         72
        .size:           8
        .value_kind:     hidden_global_offset_y
      - .offset:         80
        .size:           8
        .value_kind:     hidden_global_offset_z
      - .offset:         88
        .size:           2
        .value_kind:     hidden_grid_dims
    .group_segment_fixed_size: 32
    .kernarg_segment_align: 8
    .kernarg_segment_size: 280
    .language:       OpenCL C
    .language_version:
      - 2
      - 0
    .max_flat_workgroup_size: 256
    .name:           _Z6kernelI14inclusive_scanILN6hipcub18BlockScanAlgorithmE0EEN15benchmark_utils11custom_typeIffEELj256ELj8ELj100EEvPKT0_PS7_S7_
    .private_segment_fixed_size: 0
    .sgpr_count:     35
    .sgpr_spill_count: 0
    .symbol:         _Z6kernelI14inclusive_scanILN6hipcub18BlockScanAlgorithmE0EEN15benchmark_utils11custom_typeIffEELj256ELj8ELj100EEvPKT0_PS7_S7_.kd
    .uniform_work_group_size: 1
    .uses_dynamic_stack: false
    .vgpr_count:     44
    .vgpr_spill_count: 0
    .wavefront_size: 64
  - .agpr_count:     0
    .args:
      - .address_space:  global
        .offset:         0
        .size:           8
        .value_kind:     global_buffer
      - .address_space:  global
        .offset:         8
        .size:           8
        .value_kind:     global_buffer
      - .offset:         16
        .size:           16
        .value_kind:     by_value
      - .offset:         32
        .size:           4
        .value_kind:     hidden_block_count_x
      - .offset:         36
        .size:           4
        .value_kind:     hidden_block_count_y
      - .offset:         40
        .size:           4
        .value_kind:     hidden_block_count_z
      - .offset:         44
        .size:           2
        .value_kind:     hidden_group_size_x
      - .offset:         46
        .size:           2
        .value_kind:     hidden_group_size_y
      - .offset:         48
        .size:           2
        .value_kind:     hidden_group_size_z
      - .offset:         50
        .size:           2
        .value_kind:     hidden_remainder_x
      - .offset:         52
        .size:           2
        .value_kind:     hidden_remainder_y
      - .offset:         54
        .size:           2
        .value_kind:     hidden_remainder_z
      - .offset:         72
        .size:           8
        .value_kind:     hidden_global_offset_x
      - .offset:         80
        .size:           8
        .value_kind:     hidden_global_offset_y
      - .offset:         88
        .size:           8
        .value_kind:     hidden_global_offset_z
      - .offset:         96
        .size:           2
        .value_kind:     hidden_grid_dims
    .group_segment_fixed_size: 64
    .kernarg_segment_align: 8
    .kernarg_segment_size: 288
    .language:       OpenCL C
    .language_version:
      - 2
      - 0
    .max_flat_workgroup_size: 256
    .name:           _Z6kernelI14inclusive_scanILN6hipcub18BlockScanAlgorithmE0EEN15benchmark_utils11custom_typeIddEELj256ELj1ELj100EEvPKT0_PS7_S7_
    .private_segment_fixed_size: 0
    .sgpr_count:     33
    .sgpr_spill_count: 0
    .symbol:         _Z6kernelI14inclusive_scanILN6hipcub18BlockScanAlgorithmE0EEN15benchmark_utils11custom_typeIddEELj256ELj1ELj100EEvPKT0_PS7_S7_.kd
    .uniform_work_group_size: 1
    .uses_dynamic_stack: false
    .vgpr_count:     17
    .vgpr_spill_count: 0
    .wavefront_size: 64
  - .agpr_count:     0
    .args:
      - .address_space:  global
        .offset:         0
        .size:           8
        .value_kind:     global_buffer
      - .address_space:  global
        .offset:         8
        .size:           8
        .value_kind:     global_buffer
      - .offset:         16
        .size:           16
        .value_kind:     by_value
      - .offset:         32
        .size:           4
        .value_kind:     hidden_block_count_x
      - .offset:         36
        .size:           4
        .value_kind:     hidden_block_count_y
      - .offset:         40
        .size:           4
        .value_kind:     hidden_block_count_z
      - .offset:         44
        .size:           2
        .value_kind:     hidden_group_size_x
      - .offset:         46
        .size:           2
        .value_kind:     hidden_group_size_y
      - .offset:         48
        .size:           2
        .value_kind:     hidden_group_size_z
      - .offset:         50
        .size:           2
        .value_kind:     hidden_remainder_x
      - .offset:         52
        .size:           2
        .value_kind:     hidden_remainder_y
      - .offset:         54
        .size:           2
        .value_kind:     hidden_remainder_z
      - .offset:         72
        .size:           8
        .value_kind:     hidden_global_offset_x
      - .offset:         80
        .size:           8
        .value_kind:     hidden_global_offset_y
      - .offset:         88
        .size:           8
        .value_kind:     hidden_global_offset_z
      - .offset:         96
        .size:           2
        .value_kind:     hidden_grid_dims
    .group_segment_fixed_size: 64
    .kernarg_segment_align: 8
    .kernarg_segment_size: 288
    .language:       OpenCL C
    .language_version:
      - 2
      - 0
    .max_flat_workgroup_size: 256
    .name:           _Z6kernelI14inclusive_scanILN6hipcub18BlockScanAlgorithmE0EEN15benchmark_utils11custom_typeIddEELj256ELj4ELj100EEvPKT0_PS7_S7_
    .private_segment_fixed_size: 0
    .sgpr_count:     37
    .sgpr_spill_count: 0
    .symbol:         _Z6kernelI14inclusive_scanILN6hipcub18BlockScanAlgorithmE0EEN15benchmark_utils11custom_typeIddEELj256ELj4ELj100EEvPKT0_PS7_S7_.kd
    .uniform_work_group_size: 1
    .uses_dynamic_stack: false
    .vgpr_count:     46
    .vgpr_spill_count: 0
    .wavefront_size: 64
  - .agpr_count:     0
    .args:
      - .address_space:  global
        .offset:         0
        .size:           8
        .value_kind:     global_buffer
      - .address_space:  global
        .offset:         8
        .size:           8
        .value_kind:     global_buffer
      - .offset:         16
        .size:           16
        .value_kind:     by_value
      - .offset:         32
        .size:           4
        .value_kind:     hidden_block_count_x
      - .offset:         36
        .size:           4
        .value_kind:     hidden_block_count_y
      - .offset:         40
        .size:           4
        .value_kind:     hidden_block_count_z
      - .offset:         44
        .size:           2
        .value_kind:     hidden_group_size_x
      - .offset:         46
        .size:           2
        .value_kind:     hidden_group_size_y
      - .offset:         48
        .size:           2
        .value_kind:     hidden_group_size_z
      - .offset:         50
        .size:           2
        .value_kind:     hidden_remainder_x
      - .offset:         52
        .size:           2
        .value_kind:     hidden_remainder_y
      - .offset:         54
        .size:           2
        .value_kind:     hidden_remainder_z
      - .offset:         72
        .size:           8
        .value_kind:     hidden_global_offset_x
      - .offset:         80
        .size:           8
        .value_kind:     hidden_global_offset_y
      - .offset:         88
        .size:           8
        .value_kind:     hidden_global_offset_z
      - .offset:         96
        .size:           2
        .value_kind:     hidden_grid_dims
    .group_segment_fixed_size: 64
    .kernarg_segment_align: 8
    .kernarg_segment_size: 288
    .language:       OpenCL C
    .language_version:
      - 2
      - 0
    .max_flat_workgroup_size: 256
    .name:           _Z6kernelI14inclusive_scanILN6hipcub18BlockScanAlgorithmE0EEN15benchmark_utils11custom_typeIddEELj256ELj8ELj100EEvPKT0_PS7_S7_
    .private_segment_fixed_size: 0
    .sgpr_count:     37
    .sgpr_spill_count: 0
    .symbol:         _Z6kernelI14inclusive_scanILN6hipcub18BlockScanAlgorithmE0EEN15benchmark_utils11custom_typeIddEELj256ELj8ELj100EEvPKT0_PS7_S7_.kd
    .uniform_work_group_size: 1
    .uses_dynamic_stack: false
    .vgpr_count:     78
    .vgpr_spill_count: 0
    .wavefront_size: 64
  - .agpr_count:     0
    .args:
      - .address_space:  global
        .offset:         0
        .size:           8
        .value_kind:     global_buffer
      - .address_space:  global
        .offset:         8
        .size:           8
        .value_kind:     global_buffer
      - .offset:         16
        .size:           4
        .value_kind:     by_value
      - .offset:         24
        .size:           4
        .value_kind:     hidden_block_count_x
      - .offset:         28
        .size:           4
        .value_kind:     hidden_block_count_y
      - .offset:         32
        .size:           4
        .value_kind:     hidden_block_count_z
      - .offset:         36
        .size:           2
        .value_kind:     hidden_group_size_x
      - .offset:         38
        .size:           2
        .value_kind:     hidden_group_size_y
      - .offset:         40
        .size:           2
        .value_kind:     hidden_group_size_z
      - .offset:         42
        .size:           2
        .value_kind:     hidden_remainder_x
      - .offset:         44
        .size:           2
        .value_kind:     hidden_remainder_y
      - .offset:         46
        .size:           2
        .value_kind:     hidden_remainder_z
      - .offset:         64
        .size:           8
        .value_kind:     hidden_global_offset_x
      - .offset:         72
        .size:           8
        .value_kind:     hidden_global_offset_y
      - .offset:         80
        .size:           8
        .value_kind:     hidden_global_offset_z
      - .offset:         88
        .size:           2
        .value_kind:     hidden_grid_dims
    .group_segment_fixed_size: 4
    .kernarg_segment_align: 8
    .kernarg_segment_size: 280
    .language:       OpenCL C
    .language_version:
      - 2
      - 0
    .max_flat_workgroup_size: 64
    .name:           _Z6kernelI14exclusive_scanILN6hipcub18BlockScanAlgorithmE1EEiLj64ELj1ELj100EEvPKT0_PS4_S4_
    .private_segment_fixed_size: 0
    .sgpr_count:     26
    .sgpr_spill_count: 0
    .symbol:         _Z6kernelI14exclusive_scanILN6hipcub18BlockScanAlgorithmE1EEiLj64ELj1ELj100EEvPKT0_PS4_S4_.kd
    .uniform_work_group_size: 1
    .uses_dynamic_stack: false
    .vgpr_count:     6
    .vgpr_spill_count: 0
    .wavefront_size: 64
  - .agpr_count:     0
    .args:
      - .address_space:  global
        .offset:         0
        .size:           8
        .value_kind:     global_buffer
      - .address_space:  global
        .offset:         8
        .size:           8
        .value_kind:     global_buffer
      - .offset:         16
        .size:           4
        .value_kind:     by_value
      - .offset:         24
        .size:           4
        .value_kind:     hidden_block_count_x
      - .offset:         28
        .size:           4
        .value_kind:     hidden_block_count_y
      - .offset:         32
        .size:           4
        .value_kind:     hidden_block_count_z
      - .offset:         36
        .size:           2
        .value_kind:     hidden_group_size_x
      - .offset:         38
        .size:           2
        .value_kind:     hidden_group_size_y
      - .offset:         40
        .size:           2
        .value_kind:     hidden_group_size_z
      - .offset:         42
        .size:           2
        .value_kind:     hidden_remainder_x
      - .offset:         44
        .size:           2
        .value_kind:     hidden_remainder_y
      - .offset:         46
        .size:           2
        .value_kind:     hidden_remainder_z
      - .offset:         64
        .size:           8
        .value_kind:     hidden_global_offset_x
      - .offset:         72
        .size:           8
        .value_kind:     hidden_global_offset_y
      - .offset:         80
        .size:           8
        .value_kind:     hidden_global_offset_z
      - .offset:         88
        .size:           2
        .value_kind:     hidden_grid_dims
    .group_segment_fixed_size: 4
    .kernarg_segment_align: 8
    .kernarg_segment_size: 280
    .language:       OpenCL C
    .language_version:
      - 2
      - 0
    .max_flat_workgroup_size: 64
    .name:           _Z6kernelI14exclusive_scanILN6hipcub18BlockScanAlgorithmE1EEiLj64ELj3ELj100EEvPKT0_PS4_S4_
    .private_segment_fixed_size: 0
    .sgpr_count:     27
    .sgpr_spill_count: 0
    .symbol:         _Z6kernelI14exclusive_scanILN6hipcub18BlockScanAlgorithmE1EEiLj64ELj3ELj100EEvPKT0_PS4_S4_.kd
    .uniform_work_group_size: 1
    .uses_dynamic_stack: false
    .vgpr_count:     18
    .vgpr_spill_count: 0
    .wavefront_size: 64
  - .agpr_count:     0
    .args:
      - .address_space:  global
        .offset:         0
        .size:           8
        .value_kind:     global_buffer
      - .address_space:  global
        .offset:         8
        .size:           8
        .value_kind:     global_buffer
      - .offset:         16
        .size:           4
        .value_kind:     by_value
      - .offset:         24
        .size:           4
        .value_kind:     hidden_block_count_x
      - .offset:         28
        .size:           4
        .value_kind:     hidden_block_count_y
      - .offset:         32
        .size:           4
        .value_kind:     hidden_block_count_z
      - .offset:         36
        .size:           2
        .value_kind:     hidden_group_size_x
      - .offset:         38
        .size:           2
        .value_kind:     hidden_group_size_y
      - .offset:         40
        .size:           2
        .value_kind:     hidden_group_size_z
      - .offset:         42
        .size:           2
        .value_kind:     hidden_remainder_x
      - .offset:         44
        .size:           2
        .value_kind:     hidden_remainder_y
      - .offset:         46
        .size:           2
        .value_kind:     hidden_remainder_z
      - .offset:         64
        .size:           8
        .value_kind:     hidden_global_offset_x
      - .offset:         72
        .size:           8
        .value_kind:     hidden_global_offset_y
      - .offset:         80
        .size:           8
        .value_kind:     hidden_global_offset_z
      - .offset:         88
        .size:           2
        .value_kind:     hidden_grid_dims
    .group_segment_fixed_size: 4
    .kernarg_segment_align: 8
    .kernarg_segment_size: 280
    .language:       OpenCL C
    .language_version:
      - 2
      - 0
    .max_flat_workgroup_size: 64
    .name:           _Z6kernelI14exclusive_scanILN6hipcub18BlockScanAlgorithmE1EEiLj64ELj4ELj100EEvPKT0_PS4_S4_
    .private_segment_fixed_size: 0
    .sgpr_count:     27
    .sgpr_spill_count: 0
    .symbol:         _Z6kernelI14exclusive_scanILN6hipcub18BlockScanAlgorithmE1EEiLj64ELj4ELj100EEvPKT0_PS4_S4_.kd
    .uniform_work_group_size: 1
    .uses_dynamic_stack: false
    .vgpr_count:     12
    .vgpr_spill_count: 0
    .wavefront_size: 64
  - .agpr_count:     0
    .args:
      - .address_space:  global
        .offset:         0
        .size:           8
        .value_kind:     global_buffer
      - .address_space:  global
        .offset:         8
        .size:           8
        .value_kind:     global_buffer
      - .offset:         16
        .size:           4
        .value_kind:     by_value
      - .offset:         24
        .size:           4
        .value_kind:     hidden_block_count_x
      - .offset:         28
        .size:           4
        .value_kind:     hidden_block_count_y
      - .offset:         32
        .size:           4
        .value_kind:     hidden_block_count_z
      - .offset:         36
        .size:           2
        .value_kind:     hidden_group_size_x
      - .offset:         38
        .size:           2
        .value_kind:     hidden_group_size_y
      - .offset:         40
        .size:           2
        .value_kind:     hidden_group_size_z
      - .offset:         42
        .size:           2
        .value_kind:     hidden_remainder_x
      - .offset:         44
        .size:           2
        .value_kind:     hidden_remainder_y
      - .offset:         46
        .size:           2
        .value_kind:     hidden_remainder_z
      - .offset:         64
        .size:           8
        .value_kind:     hidden_global_offset_x
      - .offset:         72
        .size:           8
        .value_kind:     hidden_global_offset_y
      - .offset:         80
        .size:           8
        .value_kind:     hidden_global_offset_z
      - .offset:         88
        .size:           2
        .value_kind:     hidden_grid_dims
    .group_segment_fixed_size: 4
    .kernarg_segment_align: 8
    .kernarg_segment_size: 280
    .language:       OpenCL C
    .language_version:
      - 2
      - 0
    .max_flat_workgroup_size: 64
    .name:           _Z6kernelI14exclusive_scanILN6hipcub18BlockScanAlgorithmE1EEiLj64ELj8ELj100EEvPKT0_PS4_S4_
    .private_segment_fixed_size: 0
    .sgpr_count:     27
    .sgpr_spill_count: 0
    .symbol:         _Z6kernelI14exclusive_scanILN6hipcub18BlockScanAlgorithmE1EEiLj64ELj8ELj100EEvPKT0_PS4_S4_.kd
    .uniform_work_group_size: 1
    .uses_dynamic_stack: false
    .vgpr_count:     20
    .vgpr_spill_count: 0
    .wavefront_size: 64
  - .agpr_count:     0
    .args:
      - .address_space:  global
        .offset:         0
        .size:           8
        .value_kind:     global_buffer
      - .address_space:  global
        .offset:         8
        .size:           8
        .value_kind:     global_buffer
      - .offset:         16
        .size:           4
        .value_kind:     by_value
      - .offset:         24
        .size:           4
        .value_kind:     hidden_block_count_x
      - .offset:         28
        .size:           4
        .value_kind:     hidden_block_count_y
      - .offset:         32
        .size:           4
        .value_kind:     hidden_block_count_z
      - .offset:         36
        .size:           2
        .value_kind:     hidden_group_size_x
      - .offset:         38
        .size:           2
        .value_kind:     hidden_group_size_y
      - .offset:         40
        .size:           2
        .value_kind:     hidden_group_size_z
      - .offset:         42
        .size:           2
        .value_kind:     hidden_remainder_x
      - .offset:         44
        .size:           2
        .value_kind:     hidden_remainder_y
      - .offset:         46
        .size:           2
        .value_kind:     hidden_remainder_z
      - .offset:         64
        .size:           8
        .value_kind:     hidden_global_offset_x
      - .offset:         72
        .size:           8
        .value_kind:     hidden_global_offset_y
      - .offset:         80
        .size:           8
        .value_kind:     hidden_global_offset_z
      - .offset:         88
        .size:           2
        .value_kind:     hidden_grid_dims
    .group_segment_fixed_size: 4
    .kernarg_segment_align: 8
    .kernarg_segment_size: 280
    .language:       OpenCL C
    .language_version:
      - 2
      - 0
    .max_flat_workgroup_size: 64
    .name:           _Z6kernelI14exclusive_scanILN6hipcub18BlockScanAlgorithmE1EEiLj64ELj11ELj100EEvPKT0_PS4_S4_
    .private_segment_fixed_size: 0
    .sgpr_count:     27
    .sgpr_spill_count: 0
    .symbol:         _Z6kernelI14exclusive_scanILN6hipcub18BlockScanAlgorithmE1EEiLj64ELj11ELj100EEvPKT0_PS4_S4_.kd
    .uniform_work_group_size: 1
    .uses_dynamic_stack: false
    .vgpr_count:     42
    .vgpr_spill_count: 0
    .wavefront_size: 64
  - .agpr_count:     0
    .args:
      - .address_space:  global
        .offset:         0
        .size:           8
        .value_kind:     global_buffer
      - .address_space:  global
        .offset:         8
        .size:           8
        .value_kind:     global_buffer
      - .offset:         16
        .size:           4
        .value_kind:     by_value
      - .offset:         24
        .size:           4
        .value_kind:     hidden_block_count_x
      - .offset:         28
        .size:           4
        .value_kind:     hidden_block_count_y
      - .offset:         32
        .size:           4
        .value_kind:     hidden_block_count_z
      - .offset:         36
        .size:           2
        .value_kind:     hidden_group_size_x
      - .offset:         38
        .size:           2
        .value_kind:     hidden_group_size_y
      - .offset:         40
        .size:           2
        .value_kind:     hidden_group_size_z
      - .offset:         42
        .size:           2
        .value_kind:     hidden_remainder_x
      - .offset:         44
        .size:           2
        .value_kind:     hidden_remainder_y
      - .offset:         46
        .size:           2
        .value_kind:     hidden_remainder_z
      - .offset:         64
        .size:           8
        .value_kind:     hidden_global_offset_x
      - .offset:         72
        .size:           8
        .value_kind:     hidden_global_offset_y
      - .offset:         80
        .size:           8
        .value_kind:     hidden_global_offset_z
      - .offset:         88
        .size:           2
        .value_kind:     hidden_grid_dims
    .group_segment_fixed_size: 4
    .kernarg_segment_align: 8
    .kernarg_segment_size: 280
    .language:       OpenCL C
    .language_version:
      - 2
      - 0
    .max_flat_workgroup_size: 64
    .name:           _Z6kernelI14exclusive_scanILN6hipcub18BlockScanAlgorithmE1EEiLj64ELj16ELj100EEvPKT0_PS4_S4_
    .private_segment_fixed_size: 0
    .sgpr_count:     27
    .sgpr_spill_count: 0
    .symbol:         _Z6kernelI14exclusive_scanILN6hipcub18BlockScanAlgorithmE1EEiLj64ELj16ELj100EEvPKT0_PS4_S4_.kd
    .uniform_work_group_size: 1
    .uses_dynamic_stack: false
    .vgpr_count:     29
    .vgpr_spill_count: 0
    .wavefront_size: 64
  - .agpr_count:     0
    .args:
      - .address_space:  global
        .offset:         0
        .size:           8
        .value_kind:     global_buffer
      - .address_space:  global
        .offset:         8
        .size:           8
        .value_kind:     global_buffer
      - .offset:         16
        .size:           4
        .value_kind:     by_value
      - .offset:         24
        .size:           4
        .value_kind:     hidden_block_count_x
      - .offset:         28
        .size:           4
        .value_kind:     hidden_block_count_y
      - .offset:         32
        .size:           4
        .value_kind:     hidden_block_count_z
      - .offset:         36
        .size:           2
        .value_kind:     hidden_group_size_x
      - .offset:         38
        .size:           2
        .value_kind:     hidden_group_size_y
      - .offset:         40
        .size:           2
        .value_kind:     hidden_group_size_z
      - .offset:         42
        .size:           2
        .value_kind:     hidden_remainder_x
      - .offset:         44
        .size:           2
        .value_kind:     hidden_remainder_y
      - .offset:         46
        .size:           2
        .value_kind:     hidden_remainder_z
      - .offset:         64
        .size:           8
        .value_kind:     hidden_global_offset_x
      - .offset:         72
        .size:           8
        .value_kind:     hidden_global_offset_y
      - .offset:         80
        .size:           8
        .value_kind:     hidden_global_offset_z
      - .offset:         88
        .size:           2
        .value_kind:     hidden_grid_dims
    .group_segment_fixed_size: 4
    .kernarg_segment_align: 8
    .kernarg_segment_size: 280
    .language:       OpenCL C
    .language_version:
      - 2
      - 0
    .max_flat_workgroup_size: 64
    .name:           _Z6kernelI14exclusive_scanILN6hipcub18BlockScanAlgorithmE1EEfLj64ELj1ELj100EEvPKT0_PS4_S4_
    .private_segment_fixed_size: 0
    .sgpr_count:     26
    .sgpr_spill_count: 0
    .symbol:         _Z6kernelI14exclusive_scanILN6hipcub18BlockScanAlgorithmE1EEfLj64ELj1ELj100EEvPKT0_PS4_S4_.kd
    .uniform_work_group_size: 1
    .uses_dynamic_stack: false
    .vgpr_count:     6
    .vgpr_spill_count: 0
    .wavefront_size: 64
  - .agpr_count:     0
    .args:
      - .address_space:  global
        .offset:         0
        .size:           8
        .value_kind:     global_buffer
      - .address_space:  global
        .offset:         8
        .size:           8
        .value_kind:     global_buffer
      - .offset:         16
        .size:           4
        .value_kind:     by_value
      - .offset:         24
        .size:           4
        .value_kind:     hidden_block_count_x
      - .offset:         28
        .size:           4
        .value_kind:     hidden_block_count_y
      - .offset:         32
        .size:           4
        .value_kind:     hidden_block_count_z
      - .offset:         36
        .size:           2
        .value_kind:     hidden_group_size_x
      - .offset:         38
        .size:           2
        .value_kind:     hidden_group_size_y
      - .offset:         40
        .size:           2
        .value_kind:     hidden_group_size_z
      - .offset:         42
        .size:           2
        .value_kind:     hidden_remainder_x
      - .offset:         44
        .size:           2
        .value_kind:     hidden_remainder_y
      - .offset:         46
        .size:           2
        .value_kind:     hidden_remainder_z
      - .offset:         64
        .size:           8
        .value_kind:     hidden_global_offset_x
      - .offset:         72
        .size:           8
        .value_kind:     hidden_global_offset_y
      - .offset:         80
        .size:           8
        .value_kind:     hidden_global_offset_z
      - .offset:         88
        .size:           2
        .value_kind:     hidden_grid_dims
    .group_segment_fixed_size: 4
    .kernarg_segment_align: 8
    .kernarg_segment_size: 280
    .language:       OpenCL C
    .language_version:
      - 2
      - 0
    .max_flat_workgroup_size: 64
    .name:           _Z6kernelI14exclusive_scanILN6hipcub18BlockScanAlgorithmE1EEfLj64ELj3ELj100EEvPKT0_PS4_S4_
    .private_segment_fixed_size: 0
    .sgpr_count:     27
    .sgpr_spill_count: 0
    .symbol:         _Z6kernelI14exclusive_scanILN6hipcub18BlockScanAlgorithmE1EEfLj64ELj3ELj100EEvPKT0_PS4_S4_.kd
    .uniform_work_group_size: 1
    .uses_dynamic_stack: false
    .vgpr_count:     18
    .vgpr_spill_count: 0
    .wavefront_size: 64
  - .agpr_count:     0
    .args:
      - .address_space:  global
        .offset:         0
        .size:           8
        .value_kind:     global_buffer
      - .address_space:  global
        .offset:         8
        .size:           8
        .value_kind:     global_buffer
      - .offset:         16
        .size:           4
        .value_kind:     by_value
      - .offset:         24
        .size:           4
        .value_kind:     hidden_block_count_x
      - .offset:         28
        .size:           4
        .value_kind:     hidden_block_count_y
      - .offset:         32
        .size:           4
        .value_kind:     hidden_block_count_z
      - .offset:         36
        .size:           2
        .value_kind:     hidden_group_size_x
      - .offset:         38
        .size:           2
        .value_kind:     hidden_group_size_y
      - .offset:         40
        .size:           2
        .value_kind:     hidden_group_size_z
      - .offset:         42
        .size:           2
        .value_kind:     hidden_remainder_x
      - .offset:         44
        .size:           2
        .value_kind:     hidden_remainder_y
      - .offset:         46
        .size:           2
        .value_kind:     hidden_remainder_z
      - .offset:         64
        .size:           8
        .value_kind:     hidden_global_offset_x
      - .offset:         72
        .size:           8
        .value_kind:     hidden_global_offset_y
      - .offset:         80
        .size:           8
        .value_kind:     hidden_global_offset_z
      - .offset:         88
        .size:           2
        .value_kind:     hidden_grid_dims
    .group_segment_fixed_size: 4
    .kernarg_segment_align: 8
    .kernarg_segment_size: 280
    .language:       OpenCL C
    .language_version:
      - 2
      - 0
    .max_flat_workgroup_size: 64
    .name:           _Z6kernelI14exclusive_scanILN6hipcub18BlockScanAlgorithmE1EEfLj64ELj4ELj100EEvPKT0_PS4_S4_
    .private_segment_fixed_size: 0
    .sgpr_count:     27
    .sgpr_spill_count: 0
    .symbol:         _Z6kernelI14exclusive_scanILN6hipcub18BlockScanAlgorithmE1EEfLj64ELj4ELj100EEvPKT0_PS4_S4_.kd
    .uniform_work_group_size: 1
    .uses_dynamic_stack: false
    .vgpr_count:     12
    .vgpr_spill_count: 0
    .wavefront_size: 64
  - .agpr_count:     0
    .args:
      - .address_space:  global
        .offset:         0
        .size:           8
        .value_kind:     global_buffer
      - .address_space:  global
        .offset:         8
        .size:           8
        .value_kind:     global_buffer
      - .offset:         16
        .size:           4
        .value_kind:     by_value
      - .offset:         24
        .size:           4
        .value_kind:     hidden_block_count_x
      - .offset:         28
        .size:           4
        .value_kind:     hidden_block_count_y
      - .offset:         32
        .size:           4
        .value_kind:     hidden_block_count_z
      - .offset:         36
        .size:           2
        .value_kind:     hidden_group_size_x
      - .offset:         38
        .size:           2
        .value_kind:     hidden_group_size_y
      - .offset:         40
        .size:           2
        .value_kind:     hidden_group_size_z
      - .offset:         42
        .size:           2
        .value_kind:     hidden_remainder_x
      - .offset:         44
        .size:           2
        .value_kind:     hidden_remainder_y
      - .offset:         46
        .size:           2
        .value_kind:     hidden_remainder_z
      - .offset:         64
        .size:           8
        .value_kind:     hidden_global_offset_x
      - .offset:         72
        .size:           8
        .value_kind:     hidden_global_offset_y
      - .offset:         80
        .size:           8
        .value_kind:     hidden_global_offset_z
      - .offset:         88
        .size:           2
        .value_kind:     hidden_grid_dims
    .group_segment_fixed_size: 4
    .kernarg_segment_align: 8
    .kernarg_segment_size: 280
    .language:       OpenCL C
    .language_version:
      - 2
      - 0
    .max_flat_workgroup_size: 64
    .name:           _Z6kernelI14exclusive_scanILN6hipcub18BlockScanAlgorithmE1EEfLj64ELj8ELj100EEvPKT0_PS4_S4_
    .private_segment_fixed_size: 0
    .sgpr_count:     27
    .sgpr_spill_count: 0
    .symbol:         _Z6kernelI14exclusive_scanILN6hipcub18BlockScanAlgorithmE1EEfLj64ELj8ELj100EEvPKT0_PS4_S4_.kd
    .uniform_work_group_size: 1
    .uses_dynamic_stack: false
    .vgpr_count:     20
    .vgpr_spill_count: 0
    .wavefront_size: 64
  - .agpr_count:     0
    .args:
      - .address_space:  global
        .offset:         0
        .size:           8
        .value_kind:     global_buffer
      - .address_space:  global
        .offset:         8
        .size:           8
        .value_kind:     global_buffer
      - .offset:         16
        .size:           4
        .value_kind:     by_value
      - .offset:         24
        .size:           4
        .value_kind:     hidden_block_count_x
      - .offset:         28
        .size:           4
        .value_kind:     hidden_block_count_y
      - .offset:         32
        .size:           4
        .value_kind:     hidden_block_count_z
      - .offset:         36
        .size:           2
        .value_kind:     hidden_group_size_x
      - .offset:         38
        .size:           2
        .value_kind:     hidden_group_size_y
      - .offset:         40
        .size:           2
        .value_kind:     hidden_group_size_z
      - .offset:         42
        .size:           2
        .value_kind:     hidden_remainder_x
      - .offset:         44
        .size:           2
        .value_kind:     hidden_remainder_y
      - .offset:         46
        .size:           2
        .value_kind:     hidden_remainder_z
      - .offset:         64
        .size:           8
        .value_kind:     hidden_global_offset_x
      - .offset:         72
        .size:           8
        .value_kind:     hidden_global_offset_y
      - .offset:         80
        .size:           8
        .value_kind:     hidden_global_offset_z
      - .offset:         88
        .size:           2
        .value_kind:     hidden_grid_dims
    .group_segment_fixed_size: 4
    .kernarg_segment_align: 8
    .kernarg_segment_size: 280
    .language:       OpenCL C
    .language_version:
      - 2
      - 0
    .max_flat_workgroup_size: 64
    .name:           _Z6kernelI14exclusive_scanILN6hipcub18BlockScanAlgorithmE1EEfLj64ELj11ELj100EEvPKT0_PS4_S4_
    .private_segment_fixed_size: 0
    .sgpr_count:     27
    .sgpr_spill_count: 0
    .symbol:         _Z6kernelI14exclusive_scanILN6hipcub18BlockScanAlgorithmE1EEfLj64ELj11ELj100EEvPKT0_PS4_S4_.kd
    .uniform_work_group_size: 1
    .uses_dynamic_stack: false
    .vgpr_count:     42
    .vgpr_spill_count: 0
    .wavefront_size: 64
  - .agpr_count:     0
    .args:
      - .address_space:  global
        .offset:         0
        .size:           8
        .value_kind:     global_buffer
      - .address_space:  global
        .offset:         8
        .size:           8
        .value_kind:     global_buffer
      - .offset:         16
        .size:           4
        .value_kind:     by_value
      - .offset:         24
        .size:           4
        .value_kind:     hidden_block_count_x
      - .offset:         28
        .size:           4
        .value_kind:     hidden_block_count_y
      - .offset:         32
        .size:           4
        .value_kind:     hidden_block_count_z
      - .offset:         36
        .size:           2
        .value_kind:     hidden_group_size_x
      - .offset:         38
        .size:           2
        .value_kind:     hidden_group_size_y
      - .offset:         40
        .size:           2
        .value_kind:     hidden_group_size_z
      - .offset:         42
        .size:           2
        .value_kind:     hidden_remainder_x
      - .offset:         44
        .size:           2
        .value_kind:     hidden_remainder_y
      - .offset:         46
        .size:           2
        .value_kind:     hidden_remainder_z
      - .offset:         64
        .size:           8
        .value_kind:     hidden_global_offset_x
      - .offset:         72
        .size:           8
        .value_kind:     hidden_global_offset_y
      - .offset:         80
        .size:           8
        .value_kind:     hidden_global_offset_z
      - .offset:         88
        .size:           2
        .value_kind:     hidden_grid_dims
    .group_segment_fixed_size: 4
    .kernarg_segment_align: 8
    .kernarg_segment_size: 280
    .language:       OpenCL C
    .language_version:
      - 2
      - 0
    .max_flat_workgroup_size: 64
    .name:           _Z6kernelI14exclusive_scanILN6hipcub18BlockScanAlgorithmE1EEfLj64ELj16ELj100EEvPKT0_PS4_S4_
    .private_segment_fixed_size: 0
    .sgpr_count:     27
    .sgpr_spill_count: 0
    .symbol:         _Z6kernelI14exclusive_scanILN6hipcub18BlockScanAlgorithmE1EEfLj64ELj16ELj100EEvPKT0_PS4_S4_.kd
    .uniform_work_group_size: 1
    .uses_dynamic_stack: false
    .vgpr_count:     29
    .vgpr_spill_count: 0
    .wavefront_size: 64
  - .agpr_count:     0
    .args:
      - .address_space:  global
        .offset:         0
        .size:           8
        .value_kind:     global_buffer
      - .address_space:  global
        .offset:         8
        .size:           8
        .value_kind:     global_buffer
      - .offset:         16
        .size:           8
        .value_kind:     by_value
      - .offset:         24
        .size:           4
        .value_kind:     hidden_block_count_x
      - .offset:         28
        .size:           4
        .value_kind:     hidden_block_count_y
      - .offset:         32
        .size:           4
        .value_kind:     hidden_block_count_z
      - .offset:         36
        .size:           2
        .value_kind:     hidden_group_size_x
      - .offset:         38
        .size:           2
        .value_kind:     hidden_group_size_y
      - .offset:         40
        .size:           2
        .value_kind:     hidden_group_size_z
      - .offset:         42
        .size:           2
        .value_kind:     hidden_remainder_x
      - .offset:         44
        .size:           2
        .value_kind:     hidden_remainder_y
      - .offset:         46
        .size:           2
        .value_kind:     hidden_remainder_z
      - .offset:         64
        .size:           8
        .value_kind:     hidden_global_offset_x
      - .offset:         72
        .size:           8
        .value_kind:     hidden_global_offset_y
      - .offset:         80
        .size:           8
        .value_kind:     hidden_global_offset_z
      - .offset:         88
        .size:           2
        .value_kind:     hidden_grid_dims
    .group_segment_fixed_size: 8
    .kernarg_segment_align: 8
    .kernarg_segment_size: 280
    .language:       OpenCL C
    .language_version:
      - 2
      - 0
    .max_flat_workgroup_size: 64
    .name:           _Z6kernelI14exclusive_scanILN6hipcub18BlockScanAlgorithmE1EEdLj64ELj1ELj100EEvPKT0_PS4_S4_
    .private_segment_fixed_size: 0
    .sgpr_count:     27
    .sgpr_spill_count: 0
    .symbol:         _Z6kernelI14exclusive_scanILN6hipcub18BlockScanAlgorithmE1EEdLj64ELj1ELj100EEvPKT0_PS4_S4_.kd
    .uniform_work_group_size: 1
    .uses_dynamic_stack: false
    .vgpr_count:     12
    .vgpr_spill_count: 0
    .wavefront_size: 64
  - .agpr_count:     0
    .args:
      - .address_space:  global
        .offset:         0
        .size:           8
        .value_kind:     global_buffer
      - .address_space:  global
        .offset:         8
        .size:           8
        .value_kind:     global_buffer
      - .offset:         16
        .size:           8
        .value_kind:     by_value
      - .offset:         24
        .size:           4
        .value_kind:     hidden_block_count_x
      - .offset:         28
        .size:           4
        .value_kind:     hidden_block_count_y
      - .offset:         32
        .size:           4
        .value_kind:     hidden_block_count_z
      - .offset:         36
        .size:           2
        .value_kind:     hidden_group_size_x
      - .offset:         38
        .size:           2
        .value_kind:     hidden_group_size_y
      - .offset:         40
        .size:           2
        .value_kind:     hidden_group_size_z
      - .offset:         42
        .size:           2
        .value_kind:     hidden_remainder_x
      - .offset:         44
        .size:           2
        .value_kind:     hidden_remainder_y
      - .offset:         46
        .size:           2
        .value_kind:     hidden_remainder_z
      - .offset:         64
        .size:           8
        .value_kind:     hidden_global_offset_x
      - .offset:         72
        .size:           8
        .value_kind:     hidden_global_offset_y
      - .offset:         80
        .size:           8
        .value_kind:     hidden_global_offset_z
      - .offset:         88
        .size:           2
        .value_kind:     hidden_grid_dims
    .group_segment_fixed_size: 8
    .kernarg_segment_align: 8
    .kernarg_segment_size: 280
    .language:       OpenCL C
    .language_version:
      - 2
      - 0
    .max_flat_workgroup_size: 64
    .name:           _Z6kernelI14exclusive_scanILN6hipcub18BlockScanAlgorithmE1EEdLj64ELj3ELj100EEvPKT0_PS4_S4_
    .private_segment_fixed_size: 0
    .sgpr_count:     29
    .sgpr_spill_count: 0
    .symbol:         _Z6kernelI14exclusive_scanILN6hipcub18BlockScanAlgorithmE1EEdLj64ELj3ELj100EEvPKT0_PS4_S4_.kd
    .uniform_work_group_size: 1
    .uses_dynamic_stack: false
    .vgpr_count:     20
    .vgpr_spill_count: 0
    .wavefront_size: 64
  - .agpr_count:     0
    .args:
      - .address_space:  global
        .offset:         0
        .size:           8
        .value_kind:     global_buffer
      - .address_space:  global
        .offset:         8
        .size:           8
        .value_kind:     global_buffer
      - .offset:         16
        .size:           8
        .value_kind:     by_value
      - .offset:         24
        .size:           4
        .value_kind:     hidden_block_count_x
      - .offset:         28
        .size:           4
        .value_kind:     hidden_block_count_y
      - .offset:         32
        .size:           4
        .value_kind:     hidden_block_count_z
      - .offset:         36
        .size:           2
        .value_kind:     hidden_group_size_x
      - .offset:         38
        .size:           2
        .value_kind:     hidden_group_size_y
      - .offset:         40
        .size:           2
        .value_kind:     hidden_group_size_z
      - .offset:         42
        .size:           2
        .value_kind:     hidden_remainder_x
      - .offset:         44
        .size:           2
        .value_kind:     hidden_remainder_y
      - .offset:         46
        .size:           2
        .value_kind:     hidden_remainder_z
      - .offset:         64
        .size:           8
        .value_kind:     hidden_global_offset_x
      - .offset:         72
        .size:           8
        .value_kind:     hidden_global_offset_y
      - .offset:         80
        .size:           8
        .value_kind:     hidden_global_offset_z
      - .offset:         88
        .size:           2
        .value_kind:     hidden_grid_dims
    .group_segment_fixed_size: 8
    .kernarg_segment_align: 8
    .kernarg_segment_size: 280
    .language:       OpenCL C
    .language_version:
      - 2
      - 0
    .max_flat_workgroup_size: 64
    .name:           _Z6kernelI14exclusive_scanILN6hipcub18BlockScanAlgorithmE1EEdLj64ELj4ELj100EEvPKT0_PS4_S4_
    .private_segment_fixed_size: 0
    .sgpr_count:     29
    .sgpr_spill_count: 0
    .symbol:         _Z6kernelI14exclusive_scanILN6hipcub18BlockScanAlgorithmE1EEdLj64ELj4ELj100EEvPKT0_PS4_S4_.kd
    .uniform_work_group_size: 1
    .uses_dynamic_stack: false
    .vgpr_count:     17
    .vgpr_spill_count: 0
    .wavefront_size: 64
  - .agpr_count:     0
    .args:
      - .address_space:  global
        .offset:         0
        .size:           8
        .value_kind:     global_buffer
      - .address_space:  global
        .offset:         8
        .size:           8
        .value_kind:     global_buffer
      - .offset:         16
        .size:           8
        .value_kind:     by_value
      - .offset:         24
        .size:           4
        .value_kind:     hidden_block_count_x
      - .offset:         28
        .size:           4
        .value_kind:     hidden_block_count_y
      - .offset:         32
        .size:           4
        .value_kind:     hidden_block_count_z
      - .offset:         36
        .size:           2
        .value_kind:     hidden_group_size_x
      - .offset:         38
        .size:           2
        .value_kind:     hidden_group_size_y
      - .offset:         40
        .size:           2
        .value_kind:     hidden_group_size_z
      - .offset:         42
        .size:           2
        .value_kind:     hidden_remainder_x
      - .offset:         44
        .size:           2
        .value_kind:     hidden_remainder_y
      - .offset:         46
        .size:           2
        .value_kind:     hidden_remainder_z
      - .offset:         64
        .size:           8
        .value_kind:     hidden_global_offset_x
      - .offset:         72
        .size:           8
        .value_kind:     hidden_global_offset_y
      - .offset:         80
        .size:           8
        .value_kind:     hidden_global_offset_z
      - .offset:         88
        .size:           2
        .value_kind:     hidden_grid_dims
    .group_segment_fixed_size: 8
    .kernarg_segment_align: 8
    .kernarg_segment_size: 280
    .language:       OpenCL C
    .language_version:
      - 2
      - 0
    .max_flat_workgroup_size: 64
    .name:           _Z6kernelI14exclusive_scanILN6hipcub18BlockScanAlgorithmE1EEdLj64ELj8ELj100EEvPKT0_PS4_S4_
    .private_segment_fixed_size: 0
    .sgpr_count:     29
    .sgpr_spill_count: 0
    .symbol:         _Z6kernelI14exclusive_scanILN6hipcub18BlockScanAlgorithmE1EEdLj64ELj8ELj100EEvPKT0_PS4_S4_.kd
    .uniform_work_group_size: 1
    .uses_dynamic_stack: false
    .vgpr_count:     25
    .vgpr_spill_count: 0
    .wavefront_size: 64
  - .agpr_count:     0
    .args:
      - .address_space:  global
        .offset:         0
        .size:           8
        .value_kind:     global_buffer
      - .address_space:  global
        .offset:         8
        .size:           8
        .value_kind:     global_buffer
      - .offset:         16
        .size:           8
        .value_kind:     by_value
      - .offset:         24
        .size:           4
        .value_kind:     hidden_block_count_x
      - .offset:         28
        .size:           4
        .value_kind:     hidden_block_count_y
      - .offset:         32
        .size:           4
        .value_kind:     hidden_block_count_z
      - .offset:         36
        .size:           2
        .value_kind:     hidden_group_size_x
      - .offset:         38
        .size:           2
        .value_kind:     hidden_group_size_y
      - .offset:         40
        .size:           2
        .value_kind:     hidden_group_size_z
      - .offset:         42
        .size:           2
        .value_kind:     hidden_remainder_x
      - .offset:         44
        .size:           2
        .value_kind:     hidden_remainder_y
      - .offset:         46
        .size:           2
        .value_kind:     hidden_remainder_z
      - .offset:         64
        .size:           8
        .value_kind:     hidden_global_offset_x
      - .offset:         72
        .size:           8
        .value_kind:     hidden_global_offset_y
      - .offset:         80
        .size:           8
        .value_kind:     hidden_global_offset_z
      - .offset:         88
        .size:           2
        .value_kind:     hidden_grid_dims
    .group_segment_fixed_size: 8
    .kernarg_segment_align: 8
    .kernarg_segment_size: 280
    .language:       OpenCL C
    .language_version:
      - 2
      - 0
    .max_flat_workgroup_size: 64
    .name:           _Z6kernelI14exclusive_scanILN6hipcub18BlockScanAlgorithmE1EEdLj64ELj11ELj100EEvPKT0_PS4_S4_
    .private_segment_fixed_size: 0
    .sgpr_count:     29
    .sgpr_spill_count: 0
    .symbol:         _Z6kernelI14exclusive_scanILN6hipcub18BlockScanAlgorithmE1EEdLj64ELj11ELj100EEvPKT0_PS4_S4_.kd
    .uniform_work_group_size: 1
    .uses_dynamic_stack: false
    .vgpr_count:     52
    .vgpr_spill_count: 0
    .wavefront_size: 64
  - .agpr_count:     0
    .args:
      - .address_space:  global
        .offset:         0
        .size:           8
        .value_kind:     global_buffer
      - .address_space:  global
        .offset:         8
        .size:           8
        .value_kind:     global_buffer
      - .offset:         16
        .size:           8
        .value_kind:     by_value
      - .offset:         24
        .size:           4
        .value_kind:     hidden_block_count_x
      - .offset:         28
        .size:           4
        .value_kind:     hidden_block_count_y
      - .offset:         32
        .size:           4
        .value_kind:     hidden_block_count_z
      - .offset:         36
        .size:           2
        .value_kind:     hidden_group_size_x
      - .offset:         38
        .size:           2
        .value_kind:     hidden_group_size_y
      - .offset:         40
        .size:           2
        .value_kind:     hidden_group_size_z
      - .offset:         42
        .size:           2
        .value_kind:     hidden_remainder_x
      - .offset:         44
        .size:           2
        .value_kind:     hidden_remainder_y
      - .offset:         46
        .size:           2
        .value_kind:     hidden_remainder_z
      - .offset:         64
        .size:           8
        .value_kind:     hidden_global_offset_x
      - .offset:         72
        .size:           8
        .value_kind:     hidden_global_offset_y
      - .offset:         80
        .size:           8
        .value_kind:     hidden_global_offset_z
      - .offset:         88
        .size:           2
        .value_kind:     hidden_grid_dims
    .group_segment_fixed_size: 8
    .kernarg_segment_align: 8
    .kernarg_segment_size: 280
    .language:       OpenCL C
    .language_version:
      - 2
      - 0
    .max_flat_workgroup_size: 64
    .name:           _Z6kernelI14exclusive_scanILN6hipcub18BlockScanAlgorithmE1EEdLj64ELj16ELj100EEvPKT0_PS4_S4_
    .private_segment_fixed_size: 0
    .sgpr_count:     29
    .sgpr_spill_count: 0
    .symbol:         _Z6kernelI14exclusive_scanILN6hipcub18BlockScanAlgorithmE1EEdLj64ELj16ELj100EEvPKT0_PS4_S4_.kd
    .uniform_work_group_size: 1
    .uses_dynamic_stack: false
    .vgpr_count:     49
    .vgpr_spill_count: 0
    .wavefront_size: 64
  - .agpr_count:     0
    .args:
      - .address_space:  global
        .offset:         0
        .size:           8
        .value_kind:     global_buffer
      - .address_space:  global
        .offset:         8
        .size:           8
        .value_kind:     global_buffer
      - .offset:         16
        .size:           1
        .value_kind:     by_value
      - .offset:         24
        .size:           4
        .value_kind:     hidden_block_count_x
      - .offset:         28
        .size:           4
        .value_kind:     hidden_block_count_y
      - .offset:         32
        .size:           4
        .value_kind:     hidden_block_count_z
      - .offset:         36
        .size:           2
        .value_kind:     hidden_group_size_x
      - .offset:         38
        .size:           2
        .value_kind:     hidden_group_size_y
      - .offset:         40
        .size:           2
        .value_kind:     hidden_group_size_z
      - .offset:         42
        .size:           2
        .value_kind:     hidden_remainder_x
      - .offset:         44
        .size:           2
        .value_kind:     hidden_remainder_y
      - .offset:         46
        .size:           2
        .value_kind:     hidden_remainder_z
      - .offset:         64
        .size:           8
        .value_kind:     hidden_global_offset_x
      - .offset:         72
        .size:           8
        .value_kind:     hidden_global_offset_y
      - .offset:         80
        .size:           8
        .value_kind:     hidden_global_offset_z
      - .offset:         88
        .size:           2
        .value_kind:     hidden_grid_dims
    .group_segment_fixed_size: 1
    .kernarg_segment_align: 8
    .kernarg_segment_size: 280
    .language:       OpenCL C
    .language_version:
      - 2
      - 0
    .max_flat_workgroup_size: 64
    .name:           _Z6kernelI14exclusive_scanILN6hipcub18BlockScanAlgorithmE1EEhLj64ELj1ELj100EEvPKT0_PS4_S4_
    .private_segment_fixed_size: 0
    .sgpr_count:     26
    .sgpr_spill_count: 0
    .symbol:         _Z6kernelI14exclusive_scanILN6hipcub18BlockScanAlgorithmE1EEhLj64ELj1ELj100EEvPKT0_PS4_S4_.kd
    .uniform_work_group_size: 1
    .uses_dynamic_stack: false
    .vgpr_count:     6
    .vgpr_spill_count: 0
    .wavefront_size: 64
  - .agpr_count:     0
    .args:
      - .address_space:  global
        .offset:         0
        .size:           8
        .value_kind:     global_buffer
      - .address_space:  global
        .offset:         8
        .size:           8
        .value_kind:     global_buffer
      - .offset:         16
        .size:           1
        .value_kind:     by_value
      - .offset:         24
        .size:           4
        .value_kind:     hidden_block_count_x
      - .offset:         28
        .size:           4
        .value_kind:     hidden_block_count_y
      - .offset:         32
        .size:           4
        .value_kind:     hidden_block_count_z
      - .offset:         36
        .size:           2
        .value_kind:     hidden_group_size_x
      - .offset:         38
        .size:           2
        .value_kind:     hidden_group_size_y
      - .offset:         40
        .size:           2
        .value_kind:     hidden_group_size_z
      - .offset:         42
        .size:           2
        .value_kind:     hidden_remainder_x
      - .offset:         44
        .size:           2
        .value_kind:     hidden_remainder_y
      - .offset:         46
        .size:           2
        .value_kind:     hidden_remainder_z
      - .offset:         64
        .size:           8
        .value_kind:     hidden_global_offset_x
      - .offset:         72
        .size:           8
        .value_kind:     hidden_global_offset_y
      - .offset:         80
        .size:           8
        .value_kind:     hidden_global_offset_z
      - .offset:         88
        .size:           2
        .value_kind:     hidden_grid_dims
    .group_segment_fixed_size: 1
    .kernarg_segment_align: 8
    .kernarg_segment_size: 280
    .language:       OpenCL C
    .language_version:
      - 2
      - 0
    .max_flat_workgroup_size: 64
    .name:           _Z6kernelI14exclusive_scanILN6hipcub18BlockScanAlgorithmE1EEhLj64ELj3ELj100EEvPKT0_PS4_S4_
    .private_segment_fixed_size: 0
    .sgpr_count:     28
    .sgpr_spill_count: 0
    .symbol:         _Z6kernelI14exclusive_scanILN6hipcub18BlockScanAlgorithmE1EEhLj64ELj3ELj100EEvPKT0_PS4_S4_.kd
    .uniform_work_group_size: 1
    .uses_dynamic_stack: false
    .vgpr_count:     14
    .vgpr_spill_count: 0
    .wavefront_size: 64
  - .agpr_count:     0
    .args:
      - .address_space:  global
        .offset:         0
        .size:           8
        .value_kind:     global_buffer
      - .address_space:  global
        .offset:         8
        .size:           8
        .value_kind:     global_buffer
      - .offset:         16
        .size:           1
        .value_kind:     by_value
      - .offset:         24
        .size:           4
        .value_kind:     hidden_block_count_x
      - .offset:         28
        .size:           4
        .value_kind:     hidden_block_count_y
      - .offset:         32
        .size:           4
        .value_kind:     hidden_block_count_z
      - .offset:         36
        .size:           2
        .value_kind:     hidden_group_size_x
      - .offset:         38
        .size:           2
        .value_kind:     hidden_group_size_y
      - .offset:         40
        .size:           2
        .value_kind:     hidden_group_size_z
      - .offset:         42
        .size:           2
        .value_kind:     hidden_remainder_x
      - .offset:         44
        .size:           2
        .value_kind:     hidden_remainder_y
      - .offset:         46
        .size:           2
        .value_kind:     hidden_remainder_z
      - .offset:         64
        .size:           8
        .value_kind:     hidden_global_offset_x
      - .offset:         72
        .size:           8
        .value_kind:     hidden_global_offset_y
      - .offset:         80
        .size:           8
        .value_kind:     hidden_global_offset_z
      - .offset:         88
        .size:           2
        .value_kind:     hidden_grid_dims
    .group_segment_fixed_size: 1
    .kernarg_segment_align: 8
    .kernarg_segment_size: 280
    .language:       OpenCL C
    .language_version:
      - 2
      - 0
    .max_flat_workgroup_size: 64
    .name:           _Z6kernelI14exclusive_scanILN6hipcub18BlockScanAlgorithmE1EEhLj64ELj4ELj100EEvPKT0_PS4_S4_
    .private_segment_fixed_size: 0
    .sgpr_count:     27
    .sgpr_spill_count: 0
    .symbol:         _Z6kernelI14exclusive_scanILN6hipcub18BlockScanAlgorithmE1EEhLj64ELj4ELj100EEvPKT0_PS4_S4_.kd
    .uniform_work_group_size: 1
    .uses_dynamic_stack: false
    .vgpr_count:     9
    .vgpr_spill_count: 0
    .wavefront_size: 64
  - .agpr_count:     0
    .args:
      - .address_space:  global
        .offset:         0
        .size:           8
        .value_kind:     global_buffer
      - .address_space:  global
        .offset:         8
        .size:           8
        .value_kind:     global_buffer
      - .offset:         16
        .size:           1
        .value_kind:     by_value
      - .offset:         24
        .size:           4
        .value_kind:     hidden_block_count_x
      - .offset:         28
        .size:           4
        .value_kind:     hidden_block_count_y
      - .offset:         32
        .size:           4
        .value_kind:     hidden_block_count_z
      - .offset:         36
        .size:           2
        .value_kind:     hidden_group_size_x
      - .offset:         38
        .size:           2
        .value_kind:     hidden_group_size_y
      - .offset:         40
        .size:           2
        .value_kind:     hidden_group_size_z
      - .offset:         42
        .size:           2
        .value_kind:     hidden_remainder_x
      - .offset:         44
        .size:           2
        .value_kind:     hidden_remainder_y
      - .offset:         46
        .size:           2
        .value_kind:     hidden_remainder_z
      - .offset:         64
        .size:           8
        .value_kind:     hidden_global_offset_x
      - .offset:         72
        .size:           8
        .value_kind:     hidden_global_offset_y
      - .offset:         80
        .size:           8
        .value_kind:     hidden_global_offset_z
      - .offset:         88
        .size:           2
        .value_kind:     hidden_grid_dims
    .group_segment_fixed_size: 1
    .kernarg_segment_align: 8
    .kernarg_segment_size: 280
    .language:       OpenCL C
    .language_version:
      - 2
      - 0
    .max_flat_workgroup_size: 64
    .name:           _Z6kernelI14exclusive_scanILN6hipcub18BlockScanAlgorithmE1EEhLj64ELj8ELj100EEvPKT0_PS4_S4_
    .private_segment_fixed_size: 0
    .sgpr_count:     27
    .sgpr_spill_count: 0
    .symbol:         _Z6kernelI14exclusive_scanILN6hipcub18BlockScanAlgorithmE1EEhLj64ELj8ELj100EEvPKT0_PS4_S4_.kd
    .uniform_work_group_size: 1
    .uses_dynamic_stack: false
    .vgpr_count:     13
    .vgpr_spill_count: 0
    .wavefront_size: 64
  - .agpr_count:     0
    .args:
      - .address_space:  global
        .offset:         0
        .size:           8
        .value_kind:     global_buffer
      - .address_space:  global
        .offset:         8
        .size:           8
        .value_kind:     global_buffer
      - .offset:         16
        .size:           1
        .value_kind:     by_value
      - .offset:         24
        .size:           4
        .value_kind:     hidden_block_count_x
      - .offset:         28
        .size:           4
        .value_kind:     hidden_block_count_y
      - .offset:         32
        .size:           4
        .value_kind:     hidden_block_count_z
      - .offset:         36
        .size:           2
        .value_kind:     hidden_group_size_x
      - .offset:         38
        .size:           2
        .value_kind:     hidden_group_size_y
      - .offset:         40
        .size:           2
        .value_kind:     hidden_group_size_z
      - .offset:         42
        .size:           2
        .value_kind:     hidden_remainder_x
      - .offset:         44
        .size:           2
        .value_kind:     hidden_remainder_y
      - .offset:         46
        .size:           2
        .value_kind:     hidden_remainder_z
      - .offset:         64
        .size:           8
        .value_kind:     hidden_global_offset_x
      - .offset:         72
        .size:           8
        .value_kind:     hidden_global_offset_y
      - .offset:         80
        .size:           8
        .value_kind:     hidden_global_offset_z
      - .offset:         88
        .size:           2
        .value_kind:     hidden_grid_dims
    .group_segment_fixed_size: 1
    .kernarg_segment_align: 8
    .kernarg_segment_size: 280
    .language:       OpenCL C
    .language_version:
      - 2
      - 0
    .max_flat_workgroup_size: 64
    .name:           _Z6kernelI14exclusive_scanILN6hipcub18BlockScanAlgorithmE1EEhLj64ELj11ELj100EEvPKT0_PS4_S4_
    .private_segment_fixed_size: 0
    .sgpr_count:     27
    .sgpr_spill_count: 0
    .symbol:         _Z6kernelI14exclusive_scanILN6hipcub18BlockScanAlgorithmE1EEhLj64ELj11ELj100EEvPKT0_PS4_S4_.kd
    .uniform_work_group_size: 1
    .uses_dynamic_stack: false
    .vgpr_count:     39
    .vgpr_spill_count: 0
    .wavefront_size: 64
  - .agpr_count:     0
    .args:
      - .address_space:  global
        .offset:         0
        .size:           8
        .value_kind:     global_buffer
      - .address_space:  global
        .offset:         8
        .size:           8
        .value_kind:     global_buffer
      - .offset:         16
        .size:           1
        .value_kind:     by_value
      - .offset:         24
        .size:           4
        .value_kind:     hidden_block_count_x
      - .offset:         28
        .size:           4
        .value_kind:     hidden_block_count_y
      - .offset:         32
        .size:           4
        .value_kind:     hidden_block_count_z
      - .offset:         36
        .size:           2
        .value_kind:     hidden_group_size_x
      - .offset:         38
        .size:           2
        .value_kind:     hidden_group_size_y
      - .offset:         40
        .size:           2
        .value_kind:     hidden_group_size_z
      - .offset:         42
        .size:           2
        .value_kind:     hidden_remainder_x
      - .offset:         44
        .size:           2
        .value_kind:     hidden_remainder_y
      - .offset:         46
        .size:           2
        .value_kind:     hidden_remainder_z
      - .offset:         64
        .size:           8
        .value_kind:     hidden_global_offset_x
      - .offset:         72
        .size:           8
        .value_kind:     hidden_global_offset_y
      - .offset:         80
        .size:           8
        .value_kind:     hidden_global_offset_z
      - .offset:         88
        .size:           2
        .value_kind:     hidden_grid_dims
    .group_segment_fixed_size: 1
    .kernarg_segment_align: 8
    .kernarg_segment_size: 280
    .language:       OpenCL C
    .language_version:
      - 2
      - 0
    .max_flat_workgroup_size: 64
    .name:           _Z6kernelI14exclusive_scanILN6hipcub18BlockScanAlgorithmE1EEhLj64ELj16ELj100EEvPKT0_PS4_S4_
    .private_segment_fixed_size: 0
    .sgpr_count:     27
    .sgpr_spill_count: 0
    .symbol:         _Z6kernelI14exclusive_scanILN6hipcub18BlockScanAlgorithmE1EEhLj64ELj16ELj100EEvPKT0_PS4_S4_.kd
    .uniform_work_group_size: 1
    .uses_dynamic_stack: false
    .vgpr_count:     25
    .vgpr_spill_count: 0
    .wavefront_size: 64
  - .agpr_count:     0
    .args:
      - .address_space:  global
        .offset:         0
        .size:           8
        .value_kind:     global_buffer
      - .address_space:  global
        .offset:         8
        .size:           8
        .value_kind:     global_buffer
      - .offset:         16
        .size:           4
        .value_kind:     by_value
      - .offset:         24
        .size:           4
        .value_kind:     hidden_block_count_x
      - .offset:         28
        .size:           4
        .value_kind:     hidden_block_count_y
      - .offset:         32
        .size:           4
        .value_kind:     hidden_block_count_z
      - .offset:         36
        .size:           2
        .value_kind:     hidden_group_size_x
      - .offset:         38
        .size:           2
        .value_kind:     hidden_group_size_y
      - .offset:         40
        .size:           2
        .value_kind:     hidden_group_size_z
      - .offset:         42
        .size:           2
        .value_kind:     hidden_remainder_x
      - .offset:         44
        .size:           2
        .value_kind:     hidden_remainder_y
      - .offset:         46
        .size:           2
        .value_kind:     hidden_remainder_z
      - .offset:         64
        .size:           8
        .value_kind:     hidden_global_offset_x
      - .offset:         72
        .size:           8
        .value_kind:     hidden_global_offset_y
      - .offset:         80
        .size:           8
        .value_kind:     hidden_global_offset_z
      - .offset:         88
        .size:           2
        .value_kind:     hidden_grid_dims
    .group_segment_fixed_size: 1056
    .kernarg_segment_align: 8
    .kernarg_segment_size: 280
    .language:       OpenCL C
    .language_version:
      - 2
      - 0
    .max_flat_workgroup_size: 256
    .name:           _Z6kernelI14exclusive_scanILN6hipcub18BlockScanAlgorithmE1EEiLj256ELj1ELj100EEvPKT0_PS4_S4_
    .private_segment_fixed_size: 0
    .sgpr_count:     18
    .sgpr_spill_count: 0
    .symbol:         _Z6kernelI14exclusive_scanILN6hipcub18BlockScanAlgorithmE1EEiLj256ELj1ELj100EEvPKT0_PS4_S4_.kd
    .uniform_work_group_size: 1
    .uses_dynamic_stack: false
    .vgpr_count:     17
    .vgpr_spill_count: 0
    .wavefront_size: 64
  - .agpr_count:     0
    .args:
      - .address_space:  global
        .offset:         0
        .size:           8
        .value_kind:     global_buffer
      - .address_space:  global
        .offset:         8
        .size:           8
        .value_kind:     global_buffer
      - .offset:         16
        .size:           4
        .value_kind:     by_value
      - .offset:         24
        .size:           4
        .value_kind:     hidden_block_count_x
      - .offset:         28
        .size:           4
        .value_kind:     hidden_block_count_y
      - .offset:         32
        .size:           4
        .value_kind:     hidden_block_count_z
      - .offset:         36
        .size:           2
        .value_kind:     hidden_group_size_x
      - .offset:         38
        .size:           2
        .value_kind:     hidden_group_size_y
      - .offset:         40
        .size:           2
        .value_kind:     hidden_group_size_z
      - .offset:         42
        .size:           2
        .value_kind:     hidden_remainder_x
      - .offset:         44
        .size:           2
        .value_kind:     hidden_remainder_y
      - .offset:         46
        .size:           2
        .value_kind:     hidden_remainder_z
      - .offset:         64
        .size:           8
        .value_kind:     hidden_global_offset_x
      - .offset:         72
        .size:           8
        .value_kind:     hidden_global_offset_y
      - .offset:         80
        .size:           8
        .value_kind:     hidden_global_offset_z
      - .offset:         88
        .size:           2
        .value_kind:     hidden_grid_dims
    .group_segment_fixed_size: 1056
    .kernarg_segment_align: 8
    .kernarg_segment_size: 280
    .language:       OpenCL C
    .language_version:
      - 2
      - 0
    .max_flat_workgroup_size: 256
    .name:           _Z6kernelI14exclusive_scanILN6hipcub18BlockScanAlgorithmE1EEiLj256ELj3ELj100EEvPKT0_PS4_S4_
    .private_segment_fixed_size: 0
    .sgpr_count:     18
    .sgpr_spill_count: 0
    .symbol:         _Z6kernelI14exclusive_scanILN6hipcub18BlockScanAlgorithmE1EEiLj256ELj3ELj100EEvPKT0_PS4_S4_.kd
    .uniform_work_group_size: 1
    .uses_dynamic_stack: false
    .vgpr_count:     23
    .vgpr_spill_count: 0
    .wavefront_size: 64
  - .agpr_count:     0
    .args:
      - .address_space:  global
        .offset:         0
        .size:           8
        .value_kind:     global_buffer
      - .address_space:  global
        .offset:         8
        .size:           8
        .value_kind:     global_buffer
      - .offset:         16
        .size:           4
        .value_kind:     by_value
      - .offset:         24
        .size:           4
        .value_kind:     hidden_block_count_x
      - .offset:         28
        .size:           4
        .value_kind:     hidden_block_count_y
      - .offset:         32
        .size:           4
        .value_kind:     hidden_block_count_z
      - .offset:         36
        .size:           2
        .value_kind:     hidden_group_size_x
      - .offset:         38
        .size:           2
        .value_kind:     hidden_group_size_y
      - .offset:         40
        .size:           2
        .value_kind:     hidden_group_size_z
      - .offset:         42
        .size:           2
        .value_kind:     hidden_remainder_x
      - .offset:         44
        .size:           2
        .value_kind:     hidden_remainder_y
      - .offset:         46
        .size:           2
        .value_kind:     hidden_remainder_z
      - .offset:         64
        .size:           8
        .value_kind:     hidden_global_offset_x
      - .offset:         72
        .size:           8
        .value_kind:     hidden_global_offset_y
      - .offset:         80
        .size:           8
        .value_kind:     hidden_global_offset_z
      - .offset:         88
        .size:           2
        .value_kind:     hidden_grid_dims
    .group_segment_fixed_size: 1056
    .kernarg_segment_align: 8
    .kernarg_segment_size: 280
    .language:       OpenCL C
    .language_version:
      - 2
      - 0
    .max_flat_workgroup_size: 256
    .name:           _Z6kernelI14exclusive_scanILN6hipcub18BlockScanAlgorithmE1EEiLj256ELj4ELj100EEvPKT0_PS4_S4_
    .private_segment_fixed_size: 0
    .sgpr_count:     18
    .sgpr_spill_count: 0
    .symbol:         _Z6kernelI14exclusive_scanILN6hipcub18BlockScanAlgorithmE1EEiLj256ELj4ELj100EEvPKT0_PS4_S4_.kd
    .uniform_work_group_size: 1
    .uses_dynamic_stack: false
    .vgpr_count:     20
    .vgpr_spill_count: 0
    .wavefront_size: 64
  - .agpr_count:     0
    .args:
      - .address_space:  global
        .offset:         0
        .size:           8
        .value_kind:     global_buffer
      - .address_space:  global
        .offset:         8
        .size:           8
        .value_kind:     global_buffer
      - .offset:         16
        .size:           4
        .value_kind:     by_value
      - .offset:         24
        .size:           4
        .value_kind:     hidden_block_count_x
      - .offset:         28
        .size:           4
        .value_kind:     hidden_block_count_y
      - .offset:         32
        .size:           4
        .value_kind:     hidden_block_count_z
      - .offset:         36
        .size:           2
        .value_kind:     hidden_group_size_x
      - .offset:         38
        .size:           2
        .value_kind:     hidden_group_size_y
      - .offset:         40
        .size:           2
        .value_kind:     hidden_group_size_z
      - .offset:         42
        .size:           2
        .value_kind:     hidden_remainder_x
      - .offset:         44
        .size:           2
        .value_kind:     hidden_remainder_y
      - .offset:         46
        .size:           2
        .value_kind:     hidden_remainder_z
      - .offset:         64
        .size:           8
        .value_kind:     hidden_global_offset_x
      - .offset:         72
        .size:           8
        .value_kind:     hidden_global_offset_y
      - .offset:         80
        .size:           8
        .value_kind:     hidden_global_offset_z
      - .offset:         88
        .size:           2
        .value_kind:     hidden_grid_dims
    .group_segment_fixed_size: 1056
    .kernarg_segment_align: 8
    .kernarg_segment_size: 280
    .language:       OpenCL C
    .language_version:
      - 2
      - 0
    .max_flat_workgroup_size: 256
    .name:           _Z6kernelI14exclusive_scanILN6hipcub18BlockScanAlgorithmE1EEiLj256ELj8ELj100EEvPKT0_PS4_S4_
    .private_segment_fixed_size: 0
    .sgpr_count:     18
    .sgpr_spill_count: 0
    .symbol:         _Z6kernelI14exclusive_scanILN6hipcub18BlockScanAlgorithmE1EEiLj256ELj8ELj100EEvPKT0_PS4_S4_.kd
    .uniform_work_group_size: 1
    .uses_dynamic_stack: false
    .vgpr_count:     25
    .vgpr_spill_count: 0
    .wavefront_size: 64
  - .agpr_count:     0
    .args:
      - .address_space:  global
        .offset:         0
        .size:           8
        .value_kind:     global_buffer
      - .address_space:  global
        .offset:         8
        .size:           8
        .value_kind:     global_buffer
      - .offset:         16
        .size:           4
        .value_kind:     by_value
      - .offset:         24
        .size:           4
        .value_kind:     hidden_block_count_x
      - .offset:         28
        .size:           4
        .value_kind:     hidden_block_count_y
      - .offset:         32
        .size:           4
        .value_kind:     hidden_block_count_z
      - .offset:         36
        .size:           2
        .value_kind:     hidden_group_size_x
      - .offset:         38
        .size:           2
        .value_kind:     hidden_group_size_y
      - .offset:         40
        .size:           2
        .value_kind:     hidden_group_size_z
      - .offset:         42
        .size:           2
        .value_kind:     hidden_remainder_x
      - .offset:         44
        .size:           2
        .value_kind:     hidden_remainder_y
      - .offset:         46
        .size:           2
        .value_kind:     hidden_remainder_z
      - .offset:         64
        .size:           8
        .value_kind:     hidden_global_offset_x
      - .offset:         72
        .size:           8
        .value_kind:     hidden_global_offset_y
      - .offset:         80
        .size:           8
        .value_kind:     hidden_global_offset_z
      - .offset:         88
        .size:           2
        .value_kind:     hidden_grid_dims
    .group_segment_fixed_size: 1056
    .kernarg_segment_align: 8
    .kernarg_segment_size: 280
    .language:       OpenCL C
    .language_version:
      - 2
      - 0
    .max_flat_workgroup_size: 256
    .name:           _Z6kernelI14exclusive_scanILN6hipcub18BlockScanAlgorithmE1EEiLj256ELj11ELj100EEvPKT0_PS4_S4_
    .private_segment_fixed_size: 0
    .sgpr_count:     18
    .sgpr_spill_count: 0
    .symbol:         _Z6kernelI14exclusive_scanILN6hipcub18BlockScanAlgorithmE1EEiLj256ELj11ELj100EEvPKT0_PS4_S4_.kd
    .uniform_work_group_size: 1
    .uses_dynamic_stack: false
    .vgpr_count:     47
    .vgpr_spill_count: 0
    .wavefront_size: 64
  - .agpr_count:     0
    .args:
      - .address_space:  global
        .offset:         0
        .size:           8
        .value_kind:     global_buffer
      - .address_space:  global
        .offset:         8
        .size:           8
        .value_kind:     global_buffer
      - .offset:         16
        .size:           4
        .value_kind:     by_value
      - .offset:         24
        .size:           4
        .value_kind:     hidden_block_count_x
      - .offset:         28
        .size:           4
        .value_kind:     hidden_block_count_y
      - .offset:         32
        .size:           4
        .value_kind:     hidden_block_count_z
      - .offset:         36
        .size:           2
        .value_kind:     hidden_group_size_x
      - .offset:         38
        .size:           2
        .value_kind:     hidden_group_size_y
      - .offset:         40
        .size:           2
        .value_kind:     hidden_group_size_z
      - .offset:         42
        .size:           2
        .value_kind:     hidden_remainder_x
      - .offset:         44
        .size:           2
        .value_kind:     hidden_remainder_y
      - .offset:         46
        .size:           2
        .value_kind:     hidden_remainder_z
      - .offset:         64
        .size:           8
        .value_kind:     hidden_global_offset_x
      - .offset:         72
        .size:           8
        .value_kind:     hidden_global_offset_y
      - .offset:         80
        .size:           8
        .value_kind:     hidden_global_offset_z
      - .offset:         88
        .size:           2
        .value_kind:     hidden_grid_dims
    .group_segment_fixed_size: 1056
    .kernarg_segment_align: 8
    .kernarg_segment_size: 280
    .language:       OpenCL C
    .language_version:
      - 2
      - 0
    .max_flat_workgroup_size: 256
    .name:           _Z6kernelI14exclusive_scanILN6hipcub18BlockScanAlgorithmE1EEiLj256ELj16ELj100EEvPKT0_PS4_S4_
    .private_segment_fixed_size: 0
    .sgpr_count:     18
    .sgpr_spill_count: 0
    .symbol:         _Z6kernelI14exclusive_scanILN6hipcub18BlockScanAlgorithmE1EEiLj256ELj16ELj100EEvPKT0_PS4_S4_.kd
    .uniform_work_group_size: 1
    .uses_dynamic_stack: false
    .vgpr_count:     36
    .vgpr_spill_count: 0
    .wavefront_size: 64
  - .agpr_count:     0
    .args:
      - .address_space:  global
        .offset:         0
        .size:           8
        .value_kind:     global_buffer
      - .address_space:  global
        .offset:         8
        .size:           8
        .value_kind:     global_buffer
      - .offset:         16
        .size:           4
        .value_kind:     by_value
      - .offset:         24
        .size:           4
        .value_kind:     hidden_block_count_x
      - .offset:         28
        .size:           4
        .value_kind:     hidden_block_count_y
      - .offset:         32
        .size:           4
        .value_kind:     hidden_block_count_z
      - .offset:         36
        .size:           2
        .value_kind:     hidden_group_size_x
      - .offset:         38
        .size:           2
        .value_kind:     hidden_group_size_y
      - .offset:         40
        .size:           2
        .value_kind:     hidden_group_size_z
      - .offset:         42
        .size:           2
        .value_kind:     hidden_remainder_x
      - .offset:         44
        .size:           2
        .value_kind:     hidden_remainder_y
      - .offset:         46
        .size:           2
        .value_kind:     hidden_remainder_z
      - .offset:         64
        .size:           8
        .value_kind:     hidden_global_offset_x
      - .offset:         72
        .size:           8
        .value_kind:     hidden_global_offset_y
      - .offset:         80
        .size:           8
        .value_kind:     hidden_global_offset_z
      - .offset:         88
        .size:           2
        .value_kind:     hidden_grid_dims
    .group_segment_fixed_size: 1056
    .kernarg_segment_align: 8
    .kernarg_segment_size: 280
    .language:       OpenCL C
    .language_version:
      - 2
      - 0
    .max_flat_workgroup_size: 256
    .name:           _Z6kernelI14exclusive_scanILN6hipcub18BlockScanAlgorithmE1EEfLj256ELj1ELj100EEvPKT0_PS4_S4_
    .private_segment_fixed_size: 0
    .sgpr_count:     18
    .sgpr_spill_count: 0
    .symbol:         _Z6kernelI14exclusive_scanILN6hipcub18BlockScanAlgorithmE1EEfLj256ELj1ELj100EEvPKT0_PS4_S4_.kd
    .uniform_work_group_size: 1
    .uses_dynamic_stack: false
    .vgpr_count:     17
    .vgpr_spill_count: 0
    .wavefront_size: 64
  - .agpr_count:     0
    .args:
      - .address_space:  global
        .offset:         0
        .size:           8
        .value_kind:     global_buffer
      - .address_space:  global
        .offset:         8
        .size:           8
        .value_kind:     global_buffer
      - .offset:         16
        .size:           4
        .value_kind:     by_value
      - .offset:         24
        .size:           4
        .value_kind:     hidden_block_count_x
      - .offset:         28
        .size:           4
        .value_kind:     hidden_block_count_y
      - .offset:         32
        .size:           4
        .value_kind:     hidden_block_count_z
      - .offset:         36
        .size:           2
        .value_kind:     hidden_group_size_x
      - .offset:         38
        .size:           2
        .value_kind:     hidden_group_size_y
      - .offset:         40
        .size:           2
        .value_kind:     hidden_group_size_z
      - .offset:         42
        .size:           2
        .value_kind:     hidden_remainder_x
      - .offset:         44
        .size:           2
        .value_kind:     hidden_remainder_y
      - .offset:         46
        .size:           2
        .value_kind:     hidden_remainder_z
      - .offset:         64
        .size:           8
        .value_kind:     hidden_global_offset_x
      - .offset:         72
        .size:           8
        .value_kind:     hidden_global_offset_y
      - .offset:         80
        .size:           8
        .value_kind:     hidden_global_offset_z
      - .offset:         88
        .size:           2
        .value_kind:     hidden_grid_dims
    .group_segment_fixed_size: 1056
    .kernarg_segment_align: 8
    .kernarg_segment_size: 280
    .language:       OpenCL C
    .language_version:
      - 2
      - 0
    .max_flat_workgroup_size: 256
    .name:           _Z6kernelI14exclusive_scanILN6hipcub18BlockScanAlgorithmE1EEfLj256ELj3ELj100EEvPKT0_PS4_S4_
    .private_segment_fixed_size: 0
    .sgpr_count:     18
    .sgpr_spill_count: 0
    .symbol:         _Z6kernelI14exclusive_scanILN6hipcub18BlockScanAlgorithmE1EEfLj256ELj3ELj100EEvPKT0_PS4_S4_.kd
    .uniform_work_group_size: 1
    .uses_dynamic_stack: false
    .vgpr_count:     23
    .vgpr_spill_count: 0
    .wavefront_size: 64
  - .agpr_count:     0
    .args:
      - .address_space:  global
        .offset:         0
        .size:           8
        .value_kind:     global_buffer
      - .address_space:  global
        .offset:         8
        .size:           8
        .value_kind:     global_buffer
      - .offset:         16
        .size:           4
        .value_kind:     by_value
      - .offset:         24
        .size:           4
        .value_kind:     hidden_block_count_x
      - .offset:         28
        .size:           4
        .value_kind:     hidden_block_count_y
      - .offset:         32
        .size:           4
        .value_kind:     hidden_block_count_z
      - .offset:         36
        .size:           2
        .value_kind:     hidden_group_size_x
      - .offset:         38
        .size:           2
        .value_kind:     hidden_group_size_y
      - .offset:         40
        .size:           2
        .value_kind:     hidden_group_size_z
      - .offset:         42
        .size:           2
        .value_kind:     hidden_remainder_x
      - .offset:         44
        .size:           2
        .value_kind:     hidden_remainder_y
      - .offset:         46
        .size:           2
        .value_kind:     hidden_remainder_z
      - .offset:         64
        .size:           8
        .value_kind:     hidden_global_offset_x
      - .offset:         72
        .size:           8
        .value_kind:     hidden_global_offset_y
      - .offset:         80
        .size:           8
        .value_kind:     hidden_global_offset_z
      - .offset:         88
        .size:           2
        .value_kind:     hidden_grid_dims
    .group_segment_fixed_size: 1056
    .kernarg_segment_align: 8
    .kernarg_segment_size: 280
    .language:       OpenCL C
    .language_version:
      - 2
      - 0
    .max_flat_workgroup_size: 256
    .name:           _Z6kernelI14exclusive_scanILN6hipcub18BlockScanAlgorithmE1EEfLj256ELj4ELj100EEvPKT0_PS4_S4_
    .private_segment_fixed_size: 0
    .sgpr_count:     18
    .sgpr_spill_count: 0
    .symbol:         _Z6kernelI14exclusive_scanILN6hipcub18BlockScanAlgorithmE1EEfLj256ELj4ELj100EEvPKT0_PS4_S4_.kd
    .uniform_work_group_size: 1
    .uses_dynamic_stack: false
    .vgpr_count:     20
    .vgpr_spill_count: 0
    .wavefront_size: 64
  - .agpr_count:     0
    .args:
      - .address_space:  global
        .offset:         0
        .size:           8
        .value_kind:     global_buffer
      - .address_space:  global
        .offset:         8
        .size:           8
        .value_kind:     global_buffer
      - .offset:         16
        .size:           4
        .value_kind:     by_value
      - .offset:         24
        .size:           4
        .value_kind:     hidden_block_count_x
      - .offset:         28
        .size:           4
        .value_kind:     hidden_block_count_y
      - .offset:         32
        .size:           4
        .value_kind:     hidden_block_count_z
      - .offset:         36
        .size:           2
        .value_kind:     hidden_group_size_x
      - .offset:         38
        .size:           2
        .value_kind:     hidden_group_size_y
      - .offset:         40
        .size:           2
        .value_kind:     hidden_group_size_z
      - .offset:         42
        .size:           2
        .value_kind:     hidden_remainder_x
      - .offset:         44
        .size:           2
        .value_kind:     hidden_remainder_y
      - .offset:         46
        .size:           2
        .value_kind:     hidden_remainder_z
      - .offset:         64
        .size:           8
        .value_kind:     hidden_global_offset_x
      - .offset:         72
        .size:           8
        .value_kind:     hidden_global_offset_y
      - .offset:         80
        .size:           8
        .value_kind:     hidden_global_offset_z
      - .offset:         88
        .size:           2
        .value_kind:     hidden_grid_dims
    .group_segment_fixed_size: 1056
    .kernarg_segment_align: 8
    .kernarg_segment_size: 280
    .language:       OpenCL C
    .language_version:
      - 2
      - 0
    .max_flat_workgroup_size: 256
    .name:           _Z6kernelI14exclusive_scanILN6hipcub18BlockScanAlgorithmE1EEfLj256ELj8ELj100EEvPKT0_PS4_S4_
    .private_segment_fixed_size: 0
    .sgpr_count:     18
    .sgpr_spill_count: 0
    .symbol:         _Z6kernelI14exclusive_scanILN6hipcub18BlockScanAlgorithmE1EEfLj256ELj8ELj100EEvPKT0_PS4_S4_.kd
    .uniform_work_group_size: 1
    .uses_dynamic_stack: false
    .vgpr_count:     25
    .vgpr_spill_count: 0
    .wavefront_size: 64
  - .agpr_count:     0
    .args:
      - .address_space:  global
        .offset:         0
        .size:           8
        .value_kind:     global_buffer
      - .address_space:  global
        .offset:         8
        .size:           8
        .value_kind:     global_buffer
      - .offset:         16
        .size:           4
        .value_kind:     by_value
      - .offset:         24
        .size:           4
        .value_kind:     hidden_block_count_x
      - .offset:         28
        .size:           4
        .value_kind:     hidden_block_count_y
      - .offset:         32
        .size:           4
        .value_kind:     hidden_block_count_z
      - .offset:         36
        .size:           2
        .value_kind:     hidden_group_size_x
      - .offset:         38
        .size:           2
        .value_kind:     hidden_group_size_y
      - .offset:         40
        .size:           2
        .value_kind:     hidden_group_size_z
      - .offset:         42
        .size:           2
        .value_kind:     hidden_remainder_x
      - .offset:         44
        .size:           2
        .value_kind:     hidden_remainder_y
      - .offset:         46
        .size:           2
        .value_kind:     hidden_remainder_z
      - .offset:         64
        .size:           8
        .value_kind:     hidden_global_offset_x
      - .offset:         72
        .size:           8
        .value_kind:     hidden_global_offset_y
      - .offset:         80
        .size:           8
        .value_kind:     hidden_global_offset_z
      - .offset:         88
        .size:           2
        .value_kind:     hidden_grid_dims
    .group_segment_fixed_size: 1056
    .kernarg_segment_align: 8
    .kernarg_segment_size: 280
    .language:       OpenCL C
    .language_version:
      - 2
      - 0
    .max_flat_workgroup_size: 256
    .name:           _Z6kernelI14exclusive_scanILN6hipcub18BlockScanAlgorithmE1EEfLj256ELj11ELj100EEvPKT0_PS4_S4_
    .private_segment_fixed_size: 0
    .sgpr_count:     18
    .sgpr_spill_count: 0
    .symbol:         _Z6kernelI14exclusive_scanILN6hipcub18BlockScanAlgorithmE1EEfLj256ELj11ELj100EEvPKT0_PS4_S4_.kd
    .uniform_work_group_size: 1
    .uses_dynamic_stack: false
    .vgpr_count:     47
    .vgpr_spill_count: 0
    .wavefront_size: 64
  - .agpr_count:     0
    .args:
      - .address_space:  global
        .offset:         0
        .size:           8
        .value_kind:     global_buffer
      - .address_space:  global
        .offset:         8
        .size:           8
        .value_kind:     global_buffer
      - .offset:         16
        .size:           4
        .value_kind:     by_value
      - .offset:         24
        .size:           4
        .value_kind:     hidden_block_count_x
      - .offset:         28
        .size:           4
        .value_kind:     hidden_block_count_y
      - .offset:         32
        .size:           4
        .value_kind:     hidden_block_count_z
      - .offset:         36
        .size:           2
        .value_kind:     hidden_group_size_x
      - .offset:         38
        .size:           2
        .value_kind:     hidden_group_size_y
      - .offset:         40
        .size:           2
        .value_kind:     hidden_group_size_z
      - .offset:         42
        .size:           2
        .value_kind:     hidden_remainder_x
      - .offset:         44
        .size:           2
        .value_kind:     hidden_remainder_y
      - .offset:         46
        .size:           2
        .value_kind:     hidden_remainder_z
      - .offset:         64
        .size:           8
        .value_kind:     hidden_global_offset_x
      - .offset:         72
        .size:           8
        .value_kind:     hidden_global_offset_y
      - .offset:         80
        .size:           8
        .value_kind:     hidden_global_offset_z
      - .offset:         88
        .size:           2
        .value_kind:     hidden_grid_dims
    .group_segment_fixed_size: 1056
    .kernarg_segment_align: 8
    .kernarg_segment_size: 280
    .language:       OpenCL C
    .language_version:
      - 2
      - 0
    .max_flat_workgroup_size: 256
    .name:           _Z6kernelI14exclusive_scanILN6hipcub18BlockScanAlgorithmE1EEfLj256ELj16ELj100EEvPKT0_PS4_S4_
    .private_segment_fixed_size: 0
    .sgpr_count:     18
    .sgpr_spill_count: 0
    .symbol:         _Z6kernelI14exclusive_scanILN6hipcub18BlockScanAlgorithmE1EEfLj256ELj16ELj100EEvPKT0_PS4_S4_.kd
    .uniform_work_group_size: 1
    .uses_dynamic_stack: false
    .vgpr_count:     36
    .vgpr_spill_count: 0
    .wavefront_size: 64
  - .agpr_count:     0
    .args:
      - .address_space:  global
        .offset:         0
        .size:           8
        .value_kind:     global_buffer
      - .address_space:  global
        .offset:         8
        .size:           8
        .value_kind:     global_buffer
      - .offset:         16
        .size:           8
        .value_kind:     by_value
      - .offset:         24
        .size:           4
        .value_kind:     hidden_block_count_x
      - .offset:         28
        .size:           4
        .value_kind:     hidden_block_count_y
      - .offset:         32
        .size:           4
        .value_kind:     hidden_block_count_z
      - .offset:         36
        .size:           2
        .value_kind:     hidden_group_size_x
      - .offset:         38
        .size:           2
        .value_kind:     hidden_group_size_y
      - .offset:         40
        .size:           2
        .value_kind:     hidden_group_size_z
      - .offset:         42
        .size:           2
        .value_kind:     hidden_remainder_x
      - .offset:         44
        .size:           2
        .value_kind:     hidden_remainder_y
      - .offset:         46
        .size:           2
        .value_kind:     hidden_remainder_z
      - .offset:         64
        .size:           8
        .value_kind:     hidden_global_offset_x
      - .offset:         72
        .size:           8
        .value_kind:     hidden_global_offset_y
      - .offset:         80
        .size:           8
        .value_kind:     hidden_global_offset_z
      - .offset:         88
        .size:           2
        .value_kind:     hidden_grid_dims
    .group_segment_fixed_size: 2112
    .kernarg_segment_align: 8
    .kernarg_segment_size: 280
    .language:       OpenCL C
    .language_version:
      - 2
      - 0
    .max_flat_workgroup_size: 256
    .name:           _Z6kernelI14exclusive_scanILN6hipcub18BlockScanAlgorithmE1EEdLj256ELj1ELj100EEvPKT0_PS4_S4_
    .private_segment_fixed_size: 0
    .sgpr_count:     19
    .sgpr_spill_count: 0
    .symbol:         _Z6kernelI14exclusive_scanILN6hipcub18BlockScanAlgorithmE1EEdLj256ELj1ELj100EEvPKT0_PS4_S4_.kd
    .uniform_work_group_size: 1
    .uses_dynamic_stack: false
    .vgpr_count:     24
    .vgpr_spill_count: 0
    .wavefront_size: 64
  - .agpr_count:     0
    .args:
      - .address_space:  global
        .offset:         0
        .size:           8
        .value_kind:     global_buffer
      - .address_space:  global
        .offset:         8
        .size:           8
        .value_kind:     global_buffer
      - .offset:         16
        .size:           8
        .value_kind:     by_value
      - .offset:         24
        .size:           4
        .value_kind:     hidden_block_count_x
      - .offset:         28
        .size:           4
        .value_kind:     hidden_block_count_y
      - .offset:         32
        .size:           4
        .value_kind:     hidden_block_count_z
      - .offset:         36
        .size:           2
        .value_kind:     hidden_group_size_x
      - .offset:         38
        .size:           2
        .value_kind:     hidden_group_size_y
      - .offset:         40
        .size:           2
        .value_kind:     hidden_group_size_z
      - .offset:         42
        .size:           2
        .value_kind:     hidden_remainder_x
      - .offset:         44
        .size:           2
        .value_kind:     hidden_remainder_y
      - .offset:         46
        .size:           2
        .value_kind:     hidden_remainder_z
      - .offset:         64
        .size:           8
        .value_kind:     hidden_global_offset_x
      - .offset:         72
        .size:           8
        .value_kind:     hidden_global_offset_y
      - .offset:         80
        .size:           8
        .value_kind:     hidden_global_offset_z
      - .offset:         88
        .size:           2
        .value_kind:     hidden_grid_dims
    .group_segment_fixed_size: 2112
    .kernarg_segment_align: 8
    .kernarg_segment_size: 280
    .language:       OpenCL C
    .language_version:
      - 2
      - 0
    .max_flat_workgroup_size: 256
    .name:           _Z6kernelI14exclusive_scanILN6hipcub18BlockScanAlgorithmE1EEdLj256ELj3ELj100EEvPKT0_PS4_S4_
    .private_segment_fixed_size: 0
    .sgpr_count:     19
    .sgpr_spill_count: 0
    .symbol:         _Z6kernelI14exclusive_scanILN6hipcub18BlockScanAlgorithmE1EEdLj256ELj3ELj100EEvPKT0_PS4_S4_.kd
    .uniform_work_group_size: 1
    .uses_dynamic_stack: false
    .vgpr_count:     32
    .vgpr_spill_count: 0
    .wavefront_size: 64
  - .agpr_count:     0
    .args:
      - .address_space:  global
        .offset:         0
        .size:           8
        .value_kind:     global_buffer
      - .address_space:  global
        .offset:         8
        .size:           8
        .value_kind:     global_buffer
      - .offset:         16
        .size:           8
        .value_kind:     by_value
      - .offset:         24
        .size:           4
        .value_kind:     hidden_block_count_x
      - .offset:         28
        .size:           4
        .value_kind:     hidden_block_count_y
      - .offset:         32
        .size:           4
        .value_kind:     hidden_block_count_z
      - .offset:         36
        .size:           2
        .value_kind:     hidden_group_size_x
      - .offset:         38
        .size:           2
        .value_kind:     hidden_group_size_y
      - .offset:         40
        .size:           2
        .value_kind:     hidden_group_size_z
      - .offset:         42
        .size:           2
        .value_kind:     hidden_remainder_x
      - .offset:         44
        .size:           2
        .value_kind:     hidden_remainder_y
      - .offset:         46
        .size:           2
        .value_kind:     hidden_remainder_z
      - .offset:         64
        .size:           8
        .value_kind:     hidden_global_offset_x
      - .offset:         72
        .size:           8
        .value_kind:     hidden_global_offset_y
      - .offset:         80
        .size:           8
        .value_kind:     hidden_global_offset_z
      - .offset:         88
        .size:           2
        .value_kind:     hidden_grid_dims
    .group_segment_fixed_size: 2112
    .kernarg_segment_align: 8
    .kernarg_segment_size: 280
    .language:       OpenCL C
    .language_version:
      - 2
      - 0
    .max_flat_workgroup_size: 256
    .name:           _Z6kernelI14exclusive_scanILN6hipcub18BlockScanAlgorithmE1EEdLj256ELj4ELj100EEvPKT0_PS4_S4_
    .private_segment_fixed_size: 0
    .sgpr_count:     19
    .sgpr_spill_count: 0
    .symbol:         _Z6kernelI14exclusive_scanILN6hipcub18BlockScanAlgorithmE1EEdLj256ELj4ELj100EEvPKT0_PS4_S4_.kd
    .uniform_work_group_size: 1
    .uses_dynamic_stack: false
    .vgpr_count:     30
    .vgpr_spill_count: 0
    .wavefront_size: 64
  - .agpr_count:     0
    .args:
      - .address_space:  global
        .offset:         0
        .size:           8
        .value_kind:     global_buffer
      - .address_space:  global
        .offset:         8
        .size:           8
        .value_kind:     global_buffer
      - .offset:         16
        .size:           8
        .value_kind:     by_value
      - .offset:         24
        .size:           4
        .value_kind:     hidden_block_count_x
      - .offset:         28
        .size:           4
        .value_kind:     hidden_block_count_y
      - .offset:         32
        .size:           4
        .value_kind:     hidden_block_count_z
      - .offset:         36
        .size:           2
        .value_kind:     hidden_group_size_x
      - .offset:         38
        .size:           2
        .value_kind:     hidden_group_size_y
      - .offset:         40
        .size:           2
        .value_kind:     hidden_group_size_z
      - .offset:         42
        .size:           2
        .value_kind:     hidden_remainder_x
      - .offset:         44
        .size:           2
        .value_kind:     hidden_remainder_y
      - .offset:         46
        .size:           2
        .value_kind:     hidden_remainder_z
      - .offset:         64
        .size:           8
        .value_kind:     hidden_global_offset_x
      - .offset:         72
        .size:           8
        .value_kind:     hidden_global_offset_y
      - .offset:         80
        .size:           8
        .value_kind:     hidden_global_offset_z
      - .offset:         88
        .size:           2
        .value_kind:     hidden_grid_dims
    .group_segment_fixed_size: 2112
    .kernarg_segment_align: 8
    .kernarg_segment_size: 280
    .language:       OpenCL C
    .language_version:
      - 2
      - 0
    .max_flat_workgroup_size: 256
    .name:           _Z6kernelI14exclusive_scanILN6hipcub18BlockScanAlgorithmE1EEdLj256ELj8ELj100EEvPKT0_PS4_S4_
    .private_segment_fixed_size: 0
    .sgpr_count:     19
    .sgpr_spill_count: 0
    .symbol:         _Z6kernelI14exclusive_scanILN6hipcub18BlockScanAlgorithmE1EEdLj256ELj8ELj100EEvPKT0_PS4_S4_.kd
    .uniform_work_group_size: 1
    .uses_dynamic_stack: false
    .vgpr_count:     35
    .vgpr_spill_count: 0
    .wavefront_size: 64
  - .agpr_count:     0
    .args:
      - .address_space:  global
        .offset:         0
        .size:           8
        .value_kind:     global_buffer
      - .address_space:  global
        .offset:         8
        .size:           8
        .value_kind:     global_buffer
      - .offset:         16
        .size:           8
        .value_kind:     by_value
      - .offset:         24
        .size:           4
        .value_kind:     hidden_block_count_x
      - .offset:         28
        .size:           4
        .value_kind:     hidden_block_count_y
      - .offset:         32
        .size:           4
        .value_kind:     hidden_block_count_z
      - .offset:         36
        .size:           2
        .value_kind:     hidden_group_size_x
      - .offset:         38
        .size:           2
        .value_kind:     hidden_group_size_y
      - .offset:         40
        .size:           2
        .value_kind:     hidden_group_size_z
      - .offset:         42
        .size:           2
        .value_kind:     hidden_remainder_x
      - .offset:         44
        .size:           2
        .value_kind:     hidden_remainder_y
      - .offset:         46
        .size:           2
        .value_kind:     hidden_remainder_z
      - .offset:         64
        .size:           8
        .value_kind:     hidden_global_offset_x
      - .offset:         72
        .size:           8
        .value_kind:     hidden_global_offset_y
      - .offset:         80
        .size:           8
        .value_kind:     hidden_global_offset_z
      - .offset:         88
        .size:           2
        .value_kind:     hidden_grid_dims
    .group_segment_fixed_size: 2112
    .kernarg_segment_align: 8
    .kernarg_segment_size: 280
    .language:       OpenCL C
    .language_version:
      - 2
      - 0
    .max_flat_workgroup_size: 256
    .name:           _Z6kernelI14exclusive_scanILN6hipcub18BlockScanAlgorithmE1EEdLj256ELj11ELj100EEvPKT0_PS4_S4_
    .private_segment_fixed_size: 0
    .sgpr_count:     19
    .sgpr_spill_count: 0
    .symbol:         _Z6kernelI14exclusive_scanILN6hipcub18BlockScanAlgorithmE1EEdLj256ELj11ELj100EEvPKT0_PS4_S4_.kd
    .uniform_work_group_size: 1
    .uses_dynamic_stack: false
    .vgpr_count:     61
    .vgpr_spill_count: 0
    .wavefront_size: 64
  - .agpr_count:     0
    .args:
      - .address_space:  global
        .offset:         0
        .size:           8
        .value_kind:     global_buffer
      - .address_space:  global
        .offset:         8
        .size:           8
        .value_kind:     global_buffer
      - .offset:         16
        .size:           8
        .value_kind:     by_value
      - .offset:         24
        .size:           4
        .value_kind:     hidden_block_count_x
      - .offset:         28
        .size:           4
        .value_kind:     hidden_block_count_y
      - .offset:         32
        .size:           4
        .value_kind:     hidden_block_count_z
      - .offset:         36
        .size:           2
        .value_kind:     hidden_group_size_x
      - .offset:         38
        .size:           2
        .value_kind:     hidden_group_size_y
      - .offset:         40
        .size:           2
        .value_kind:     hidden_group_size_z
      - .offset:         42
        .size:           2
        .value_kind:     hidden_remainder_x
      - .offset:         44
        .size:           2
        .value_kind:     hidden_remainder_y
      - .offset:         46
        .size:           2
        .value_kind:     hidden_remainder_z
      - .offset:         64
        .size:           8
        .value_kind:     hidden_global_offset_x
      - .offset:         72
        .size:           8
        .value_kind:     hidden_global_offset_y
      - .offset:         80
        .size:           8
        .value_kind:     hidden_global_offset_z
      - .offset:         88
        .size:           2
        .value_kind:     hidden_grid_dims
    .group_segment_fixed_size: 2112
    .kernarg_segment_align: 8
    .kernarg_segment_size: 280
    .language:       OpenCL C
    .language_version:
      - 2
      - 0
    .max_flat_workgroup_size: 256
    .name:           _Z6kernelI14exclusive_scanILN6hipcub18BlockScanAlgorithmE1EEdLj256ELj16ELj100EEvPKT0_PS4_S4_
    .private_segment_fixed_size: 0
    .sgpr_count:     19
    .sgpr_spill_count: 0
    .symbol:         _Z6kernelI14exclusive_scanILN6hipcub18BlockScanAlgorithmE1EEdLj256ELj16ELj100EEvPKT0_PS4_S4_.kd
    .uniform_work_group_size: 1
    .uses_dynamic_stack: false
    .vgpr_count:     52
    .vgpr_spill_count: 0
    .wavefront_size: 64
  - .agpr_count:     0
    .args:
      - .address_space:  global
        .offset:         0
        .size:           8
        .value_kind:     global_buffer
      - .address_space:  global
        .offset:         8
        .size:           8
        .value_kind:     global_buffer
      - .offset:         16
        .size:           1
        .value_kind:     by_value
      - .offset:         24
        .size:           4
        .value_kind:     hidden_block_count_x
      - .offset:         28
        .size:           4
        .value_kind:     hidden_block_count_y
      - .offset:         32
        .size:           4
        .value_kind:     hidden_block_count_z
      - .offset:         36
        .size:           2
        .value_kind:     hidden_group_size_x
      - .offset:         38
        .size:           2
        .value_kind:     hidden_group_size_y
      - .offset:         40
        .size:           2
        .value_kind:     hidden_group_size_z
      - .offset:         42
        .size:           2
        .value_kind:     hidden_remainder_x
      - .offset:         44
        .size:           2
        .value_kind:     hidden_remainder_y
      - .offset:         46
        .size:           2
        .value_kind:     hidden_remainder_z
      - .offset:         64
        .size:           8
        .value_kind:     hidden_global_offset_x
      - .offset:         72
        .size:           8
        .value_kind:     hidden_global_offset_y
      - .offset:         80
        .size:           8
        .value_kind:     hidden_global_offset_z
      - .offset:         88
        .size:           2
        .value_kind:     hidden_grid_dims
    .group_segment_fixed_size: 264
    .kernarg_segment_align: 8
    .kernarg_segment_size: 280
    .language:       OpenCL C
    .language_version:
      - 2
      - 0
    .max_flat_workgroup_size: 256
    .name:           _Z6kernelI14exclusive_scanILN6hipcub18BlockScanAlgorithmE1EEhLj256ELj1ELj100EEvPKT0_PS4_S4_
    .private_segment_fixed_size: 0
    .sgpr_count:     18
    .sgpr_spill_count: 0
    .symbol:         _Z6kernelI14exclusive_scanILN6hipcub18BlockScanAlgorithmE1EEhLj256ELj1ELj100EEvPKT0_PS4_S4_.kd
    .uniform_work_group_size: 1
    .uses_dynamic_stack: false
    .vgpr_count:     17
    .vgpr_spill_count: 0
    .wavefront_size: 64
  - .agpr_count:     0
    .args:
      - .address_space:  global
        .offset:         0
        .size:           8
        .value_kind:     global_buffer
      - .address_space:  global
        .offset:         8
        .size:           8
        .value_kind:     global_buffer
      - .offset:         16
        .size:           1
        .value_kind:     by_value
      - .offset:         24
        .size:           4
        .value_kind:     hidden_block_count_x
      - .offset:         28
        .size:           4
        .value_kind:     hidden_block_count_y
      - .offset:         32
        .size:           4
        .value_kind:     hidden_block_count_z
      - .offset:         36
        .size:           2
        .value_kind:     hidden_group_size_x
      - .offset:         38
        .size:           2
        .value_kind:     hidden_group_size_y
      - .offset:         40
        .size:           2
        .value_kind:     hidden_group_size_z
      - .offset:         42
        .size:           2
        .value_kind:     hidden_remainder_x
      - .offset:         44
        .size:           2
        .value_kind:     hidden_remainder_y
      - .offset:         46
        .size:           2
        .value_kind:     hidden_remainder_z
      - .offset:         64
        .size:           8
        .value_kind:     hidden_global_offset_x
      - .offset:         72
        .size:           8
        .value_kind:     hidden_global_offset_y
      - .offset:         80
        .size:           8
        .value_kind:     hidden_global_offset_z
      - .offset:         88
        .size:           2
        .value_kind:     hidden_grid_dims
    .group_segment_fixed_size: 264
    .kernarg_segment_align: 8
    .kernarg_segment_size: 280
    .language:       OpenCL C
    .language_version:
      - 2
      - 0
    .max_flat_workgroup_size: 256
    .name:           _Z6kernelI14exclusive_scanILN6hipcub18BlockScanAlgorithmE1EEhLj256ELj3ELj100EEvPKT0_PS4_S4_
    .private_segment_fixed_size: 0
    .sgpr_count:     18
    .sgpr_spill_count: 0
    .symbol:         _Z6kernelI14exclusive_scanILN6hipcub18BlockScanAlgorithmE1EEhLj256ELj3ELj100EEvPKT0_PS4_S4_.kd
    .uniform_work_group_size: 1
    .uses_dynamic_stack: false
    .vgpr_count:     23
    .vgpr_spill_count: 0
    .wavefront_size: 64
  - .agpr_count:     0
    .args:
      - .address_space:  global
        .offset:         0
        .size:           8
        .value_kind:     global_buffer
      - .address_space:  global
        .offset:         8
        .size:           8
        .value_kind:     global_buffer
      - .offset:         16
        .size:           1
        .value_kind:     by_value
      - .offset:         24
        .size:           4
        .value_kind:     hidden_block_count_x
      - .offset:         28
        .size:           4
        .value_kind:     hidden_block_count_y
      - .offset:         32
        .size:           4
        .value_kind:     hidden_block_count_z
      - .offset:         36
        .size:           2
        .value_kind:     hidden_group_size_x
      - .offset:         38
        .size:           2
        .value_kind:     hidden_group_size_y
      - .offset:         40
        .size:           2
        .value_kind:     hidden_group_size_z
      - .offset:         42
        .size:           2
        .value_kind:     hidden_remainder_x
      - .offset:         44
        .size:           2
        .value_kind:     hidden_remainder_y
      - .offset:         46
        .size:           2
        .value_kind:     hidden_remainder_z
      - .offset:         64
        .size:           8
        .value_kind:     hidden_global_offset_x
      - .offset:         72
        .size:           8
        .value_kind:     hidden_global_offset_y
      - .offset:         80
        .size:           8
        .value_kind:     hidden_global_offset_z
      - .offset:         88
        .size:           2
        .value_kind:     hidden_grid_dims
    .group_segment_fixed_size: 264
    .kernarg_segment_align: 8
    .kernarg_segment_size: 280
    .language:       OpenCL C
    .language_version:
      - 2
      - 0
    .max_flat_workgroup_size: 256
    .name:           _Z6kernelI14exclusive_scanILN6hipcub18BlockScanAlgorithmE1EEhLj256ELj4ELj100EEvPKT0_PS4_S4_
    .private_segment_fixed_size: 0
    .sgpr_count:     18
    .sgpr_spill_count: 0
    .symbol:         _Z6kernelI14exclusive_scanILN6hipcub18BlockScanAlgorithmE1EEhLj256ELj4ELj100EEvPKT0_PS4_S4_.kd
    .uniform_work_group_size: 1
    .uses_dynamic_stack: false
    .vgpr_count:     19
    .vgpr_spill_count: 0
    .wavefront_size: 64
  - .agpr_count:     0
    .args:
      - .address_space:  global
        .offset:         0
        .size:           8
        .value_kind:     global_buffer
      - .address_space:  global
        .offset:         8
        .size:           8
        .value_kind:     global_buffer
      - .offset:         16
        .size:           1
        .value_kind:     by_value
      - .offset:         24
        .size:           4
        .value_kind:     hidden_block_count_x
      - .offset:         28
        .size:           4
        .value_kind:     hidden_block_count_y
      - .offset:         32
        .size:           4
        .value_kind:     hidden_block_count_z
      - .offset:         36
        .size:           2
        .value_kind:     hidden_group_size_x
      - .offset:         38
        .size:           2
        .value_kind:     hidden_group_size_y
      - .offset:         40
        .size:           2
        .value_kind:     hidden_group_size_z
      - .offset:         42
        .size:           2
        .value_kind:     hidden_remainder_x
      - .offset:         44
        .size:           2
        .value_kind:     hidden_remainder_y
      - .offset:         46
        .size:           2
        .value_kind:     hidden_remainder_z
      - .offset:         64
        .size:           8
        .value_kind:     hidden_global_offset_x
      - .offset:         72
        .size:           8
        .value_kind:     hidden_global_offset_y
      - .offset:         80
        .size:           8
        .value_kind:     hidden_global_offset_z
      - .offset:         88
        .size:           2
        .value_kind:     hidden_grid_dims
    .group_segment_fixed_size: 264
    .kernarg_segment_align: 8
    .kernarg_segment_size: 280
    .language:       OpenCL C
    .language_version:
      - 2
      - 0
    .max_flat_workgroup_size: 256
    .name:           _Z6kernelI14exclusive_scanILN6hipcub18BlockScanAlgorithmE1EEhLj256ELj8ELj100EEvPKT0_PS4_S4_
    .private_segment_fixed_size: 0
    .sgpr_count:     18
    .sgpr_spill_count: 0
    .symbol:         _Z6kernelI14exclusive_scanILN6hipcub18BlockScanAlgorithmE1EEhLj256ELj8ELj100EEvPKT0_PS4_S4_.kd
    .uniform_work_group_size: 1
    .uses_dynamic_stack: false
    .vgpr_count:     21
    .vgpr_spill_count: 0
    .wavefront_size: 64
  - .agpr_count:     0
    .args:
      - .address_space:  global
        .offset:         0
        .size:           8
        .value_kind:     global_buffer
      - .address_space:  global
        .offset:         8
        .size:           8
        .value_kind:     global_buffer
      - .offset:         16
        .size:           1
        .value_kind:     by_value
      - .offset:         24
        .size:           4
        .value_kind:     hidden_block_count_x
      - .offset:         28
        .size:           4
        .value_kind:     hidden_block_count_y
      - .offset:         32
        .size:           4
        .value_kind:     hidden_block_count_z
      - .offset:         36
        .size:           2
        .value_kind:     hidden_group_size_x
      - .offset:         38
        .size:           2
        .value_kind:     hidden_group_size_y
      - .offset:         40
        .size:           2
        .value_kind:     hidden_group_size_z
      - .offset:         42
        .size:           2
        .value_kind:     hidden_remainder_x
      - .offset:         44
        .size:           2
        .value_kind:     hidden_remainder_y
      - .offset:         46
        .size:           2
        .value_kind:     hidden_remainder_z
      - .offset:         64
        .size:           8
        .value_kind:     hidden_global_offset_x
      - .offset:         72
        .size:           8
        .value_kind:     hidden_global_offset_y
      - .offset:         80
        .size:           8
        .value_kind:     hidden_global_offset_z
      - .offset:         88
        .size:           2
        .value_kind:     hidden_grid_dims
    .group_segment_fixed_size: 264
    .kernarg_segment_align: 8
    .kernarg_segment_size: 280
    .language:       OpenCL C
    .language_version:
      - 2
      - 0
    .max_flat_workgroup_size: 256
    .name:           _Z6kernelI14exclusive_scanILN6hipcub18BlockScanAlgorithmE1EEhLj256ELj11ELj100EEvPKT0_PS4_S4_
    .private_segment_fixed_size: 0
    .sgpr_count:     18
    .sgpr_spill_count: 0
    .symbol:         _Z6kernelI14exclusive_scanILN6hipcub18BlockScanAlgorithmE1EEhLj256ELj11ELj100EEvPKT0_PS4_S4_.kd
    .uniform_work_group_size: 1
    .uses_dynamic_stack: false
    .vgpr_count:     45
    .vgpr_spill_count: 0
    .wavefront_size: 64
  - .agpr_count:     0
    .args:
      - .address_space:  global
        .offset:         0
        .size:           8
        .value_kind:     global_buffer
      - .address_space:  global
        .offset:         8
        .size:           8
        .value_kind:     global_buffer
      - .offset:         16
        .size:           1
        .value_kind:     by_value
      - .offset:         24
        .size:           4
        .value_kind:     hidden_block_count_x
      - .offset:         28
        .size:           4
        .value_kind:     hidden_block_count_y
      - .offset:         32
        .size:           4
        .value_kind:     hidden_block_count_z
      - .offset:         36
        .size:           2
        .value_kind:     hidden_group_size_x
      - .offset:         38
        .size:           2
        .value_kind:     hidden_group_size_y
      - .offset:         40
        .size:           2
        .value_kind:     hidden_group_size_z
      - .offset:         42
        .size:           2
        .value_kind:     hidden_remainder_x
      - .offset:         44
        .size:           2
        .value_kind:     hidden_remainder_y
      - .offset:         46
        .size:           2
        .value_kind:     hidden_remainder_z
      - .offset:         64
        .size:           8
        .value_kind:     hidden_global_offset_x
      - .offset:         72
        .size:           8
        .value_kind:     hidden_global_offset_y
      - .offset:         80
        .size:           8
        .value_kind:     hidden_global_offset_z
      - .offset:         88
        .size:           2
        .value_kind:     hidden_grid_dims
    .group_segment_fixed_size: 264
    .kernarg_segment_align: 8
    .kernarg_segment_size: 280
    .language:       OpenCL C
    .language_version:
      - 2
      - 0
    .max_flat_workgroup_size: 256
    .name:           _Z6kernelI14exclusive_scanILN6hipcub18BlockScanAlgorithmE1EEhLj256ELj16ELj100EEvPKT0_PS4_S4_
    .private_segment_fixed_size: 0
    .sgpr_count:     18
    .sgpr_spill_count: 0
    .symbol:         _Z6kernelI14exclusive_scanILN6hipcub18BlockScanAlgorithmE1EEhLj256ELj16ELj100EEvPKT0_PS4_S4_.kd
    .uniform_work_group_size: 1
    .uses_dynamic_stack: false
    .vgpr_count:     32
    .vgpr_spill_count: 0
    .wavefront_size: 64
  - .agpr_count:     0
    .args:
      - .address_space:  global
        .offset:         0
        .size:           8
        .value_kind:     global_buffer
      - .address_space:  global
        .offset:         8
        .size:           8
        .value_kind:     global_buffer
      - .offset:         16
        .size:           8
        .value_kind:     by_value
      - .offset:         24
        .size:           4
        .value_kind:     hidden_block_count_x
      - .offset:         28
        .size:           4
        .value_kind:     hidden_block_count_y
      - .offset:         32
        .size:           4
        .value_kind:     hidden_block_count_z
      - .offset:         36
        .size:           2
        .value_kind:     hidden_group_size_x
      - .offset:         38
        .size:           2
        .value_kind:     hidden_group_size_y
      - .offset:         40
        .size:           2
        .value_kind:     hidden_group_size_z
      - .offset:         42
        .size:           2
        .value_kind:     hidden_remainder_x
      - .offset:         44
        .size:           2
        .value_kind:     hidden_remainder_y
      - .offset:         46
        .size:           2
        .value_kind:     hidden_remainder_z
      - .offset:         64
        .size:           8
        .value_kind:     hidden_global_offset_x
      - .offset:         72
        .size:           8
        .value_kind:     hidden_global_offset_y
      - .offset:         80
        .size:           8
        .value_kind:     hidden_global_offset_z
      - .offset:         88
        .size:           2
        .value_kind:     hidden_grid_dims
    .group_segment_fixed_size: 2112
    .kernarg_segment_align: 8
    .kernarg_segment_size: 280
    .language:       OpenCL C
    .language_version:
      - 2
      - 0
    .max_flat_workgroup_size: 256
    .name:           _Z6kernelI14exclusive_scanILN6hipcub18BlockScanAlgorithmE1EEN15benchmark_utils11custom_typeIffEELj256ELj1ELj100EEvPKT0_PS7_S7_
    .private_segment_fixed_size: 0
    .sgpr_count:     19
    .sgpr_spill_count: 0
    .symbol:         _Z6kernelI14exclusive_scanILN6hipcub18BlockScanAlgorithmE1EEN15benchmark_utils11custom_typeIffEELj256ELj1ELj100EEvPKT0_PS7_S7_.kd
    .uniform_work_group_size: 1
    .uses_dynamic_stack: false
    .vgpr_count:     24
    .vgpr_spill_count: 0
    .wavefront_size: 64
  - .agpr_count:     0
    .args:
      - .address_space:  global
        .offset:         0
        .size:           8
        .value_kind:     global_buffer
      - .address_space:  global
        .offset:         8
        .size:           8
        .value_kind:     global_buffer
      - .offset:         16
        .size:           8
        .value_kind:     by_value
      - .offset:         24
        .size:           4
        .value_kind:     hidden_block_count_x
      - .offset:         28
        .size:           4
        .value_kind:     hidden_block_count_y
      - .offset:         32
        .size:           4
        .value_kind:     hidden_block_count_z
      - .offset:         36
        .size:           2
        .value_kind:     hidden_group_size_x
      - .offset:         38
        .size:           2
        .value_kind:     hidden_group_size_y
      - .offset:         40
        .size:           2
        .value_kind:     hidden_group_size_z
      - .offset:         42
        .size:           2
        .value_kind:     hidden_remainder_x
      - .offset:         44
        .size:           2
        .value_kind:     hidden_remainder_y
      - .offset:         46
        .size:           2
        .value_kind:     hidden_remainder_z
      - .offset:         64
        .size:           8
        .value_kind:     hidden_global_offset_x
      - .offset:         72
        .size:           8
        .value_kind:     hidden_global_offset_y
      - .offset:         80
        .size:           8
        .value_kind:     hidden_global_offset_z
      - .offset:         88
        .size:           2
        .value_kind:     hidden_grid_dims
    .group_segment_fixed_size: 2112
    .kernarg_segment_align: 8
    .kernarg_segment_size: 280
    .language:       OpenCL C
    .language_version:
      - 2
      - 0
    .max_flat_workgroup_size: 256
    .name:           _Z6kernelI14exclusive_scanILN6hipcub18BlockScanAlgorithmE1EEN15benchmark_utils11custom_typeIffEELj256ELj4ELj100EEvPKT0_PS7_S7_
    .private_segment_fixed_size: 0
    .sgpr_count:     19
    .sgpr_spill_count: 0
    .symbol:         _Z6kernelI14exclusive_scanILN6hipcub18BlockScanAlgorithmE1EEN15benchmark_utils11custom_typeIffEELj256ELj4ELj100EEvPKT0_PS7_S7_.kd
    .uniform_work_group_size: 1
    .uses_dynamic_stack: false
    .vgpr_count:     30
    .vgpr_spill_count: 0
    .wavefront_size: 64
  - .agpr_count:     0
    .args:
      - .address_space:  global
        .offset:         0
        .size:           8
        .value_kind:     global_buffer
      - .address_space:  global
        .offset:         8
        .size:           8
        .value_kind:     global_buffer
      - .offset:         16
        .size:           8
        .value_kind:     by_value
      - .offset:         24
        .size:           4
        .value_kind:     hidden_block_count_x
      - .offset:         28
        .size:           4
        .value_kind:     hidden_block_count_y
      - .offset:         32
        .size:           4
        .value_kind:     hidden_block_count_z
      - .offset:         36
        .size:           2
        .value_kind:     hidden_group_size_x
      - .offset:         38
        .size:           2
        .value_kind:     hidden_group_size_y
      - .offset:         40
        .size:           2
        .value_kind:     hidden_group_size_z
      - .offset:         42
        .size:           2
        .value_kind:     hidden_remainder_x
      - .offset:         44
        .size:           2
        .value_kind:     hidden_remainder_y
      - .offset:         46
        .size:           2
        .value_kind:     hidden_remainder_z
      - .offset:         64
        .size:           8
        .value_kind:     hidden_global_offset_x
      - .offset:         72
        .size:           8
        .value_kind:     hidden_global_offset_y
      - .offset:         80
        .size:           8
        .value_kind:     hidden_global_offset_z
      - .offset:         88
        .size:           2
        .value_kind:     hidden_grid_dims
    .group_segment_fixed_size: 2112
    .kernarg_segment_align: 8
    .kernarg_segment_size: 280
    .language:       OpenCL C
    .language_version:
      - 2
      - 0
    .max_flat_workgroup_size: 256
    .name:           _Z6kernelI14exclusive_scanILN6hipcub18BlockScanAlgorithmE1EEN15benchmark_utils11custom_typeIffEELj256ELj8ELj100EEvPKT0_PS7_S7_
    .private_segment_fixed_size: 0
    .sgpr_count:     19
    .sgpr_spill_count: 0
    .symbol:         _Z6kernelI14exclusive_scanILN6hipcub18BlockScanAlgorithmE1EEN15benchmark_utils11custom_typeIffEELj256ELj8ELj100EEvPKT0_PS7_S7_.kd
    .uniform_work_group_size: 1
    .uses_dynamic_stack: false
    .vgpr_count:     36
    .vgpr_spill_count: 0
    .wavefront_size: 64
  - .agpr_count:     0
    .args:
      - .address_space:  global
        .offset:         0
        .size:           8
        .value_kind:     global_buffer
      - .address_space:  global
        .offset:         8
        .size:           8
        .value_kind:     global_buffer
      - .offset:         16
        .size:           16
        .value_kind:     by_value
      - .offset:         32
        .size:           4
        .value_kind:     hidden_block_count_x
      - .offset:         36
        .size:           4
        .value_kind:     hidden_block_count_y
      - .offset:         40
        .size:           4
        .value_kind:     hidden_block_count_z
      - .offset:         44
        .size:           2
        .value_kind:     hidden_group_size_x
      - .offset:         46
        .size:           2
        .value_kind:     hidden_group_size_y
      - .offset:         48
        .size:           2
        .value_kind:     hidden_group_size_z
      - .offset:         50
        .size:           2
        .value_kind:     hidden_remainder_x
      - .offset:         52
        .size:           2
        .value_kind:     hidden_remainder_y
      - .offset:         54
        .size:           2
        .value_kind:     hidden_remainder_z
      - .offset:         72
        .size:           8
        .value_kind:     hidden_global_offset_x
      - .offset:         80
        .size:           8
        .value_kind:     hidden_global_offset_y
      - .offset:         88
        .size:           8
        .value_kind:     hidden_global_offset_z
      - .offset:         96
        .size:           2
        .value_kind:     hidden_grid_dims
    .group_segment_fixed_size: 4224
    .kernarg_segment_align: 8
    .kernarg_segment_size: 288
    .language:       OpenCL C
    .language_version:
      - 2
      - 0
    .max_flat_workgroup_size: 256
    .name:           _Z6kernelI14exclusive_scanILN6hipcub18BlockScanAlgorithmE1EEN15benchmark_utils11custom_typeIddEELj256ELj1ELj100EEvPKT0_PS7_S7_
    .private_segment_fixed_size: 0
    .sgpr_count:     23
    .sgpr_spill_count: 0
    .symbol:         _Z6kernelI14exclusive_scanILN6hipcub18BlockScanAlgorithmE1EEN15benchmark_utils11custom_typeIddEELj256ELj1ELj100EEvPKT0_PS7_S7_.kd
    .uniform_work_group_size: 1
    .uses_dynamic_stack: false
    .vgpr_count:     36
    .vgpr_spill_count: 0
    .wavefront_size: 64
  - .agpr_count:     0
    .args:
      - .address_space:  global
        .offset:         0
        .size:           8
        .value_kind:     global_buffer
      - .address_space:  global
        .offset:         8
        .size:           8
        .value_kind:     global_buffer
      - .offset:         16
        .size:           16
        .value_kind:     by_value
      - .offset:         32
        .size:           4
        .value_kind:     hidden_block_count_x
      - .offset:         36
        .size:           4
        .value_kind:     hidden_block_count_y
      - .offset:         40
        .size:           4
        .value_kind:     hidden_block_count_z
      - .offset:         44
        .size:           2
        .value_kind:     hidden_group_size_x
      - .offset:         46
        .size:           2
        .value_kind:     hidden_group_size_y
      - .offset:         48
        .size:           2
        .value_kind:     hidden_group_size_z
      - .offset:         50
        .size:           2
        .value_kind:     hidden_remainder_x
      - .offset:         52
        .size:           2
        .value_kind:     hidden_remainder_y
      - .offset:         54
        .size:           2
        .value_kind:     hidden_remainder_z
      - .offset:         72
        .size:           8
        .value_kind:     hidden_global_offset_x
      - .offset:         80
        .size:           8
        .value_kind:     hidden_global_offset_y
      - .offset:         88
        .size:           8
        .value_kind:     hidden_global_offset_z
      - .offset:         96
        .size:           2
        .value_kind:     hidden_grid_dims
    .group_segment_fixed_size: 4224
    .kernarg_segment_align: 8
    .kernarg_segment_size: 288
    .language:       OpenCL C
    .language_version:
      - 2
      - 0
    .max_flat_workgroup_size: 256
    .name:           _Z6kernelI14exclusive_scanILN6hipcub18BlockScanAlgorithmE1EEN15benchmark_utils11custom_typeIddEELj256ELj4ELj100EEvPKT0_PS7_S7_
    .private_segment_fixed_size: 0
    .sgpr_count:     23
    .sgpr_spill_count: 0
    .symbol:         _Z6kernelI14exclusive_scanILN6hipcub18BlockScanAlgorithmE1EEN15benchmark_utils11custom_typeIddEELj256ELj4ELj100EEvPKT0_PS7_S7_.kd
    .uniform_work_group_size: 1
    .uses_dynamic_stack: false
    .vgpr_count:     47
    .vgpr_spill_count: 0
    .wavefront_size: 64
  - .agpr_count:     0
    .args:
      - .address_space:  global
        .offset:         0
        .size:           8
        .value_kind:     global_buffer
      - .address_space:  global
        .offset:         8
        .size:           8
        .value_kind:     global_buffer
      - .offset:         16
        .size:           16
        .value_kind:     by_value
      - .offset:         32
        .size:           4
        .value_kind:     hidden_block_count_x
      - .offset:         36
        .size:           4
        .value_kind:     hidden_block_count_y
      - .offset:         40
        .size:           4
        .value_kind:     hidden_block_count_z
      - .offset:         44
        .size:           2
        .value_kind:     hidden_group_size_x
      - .offset:         46
        .size:           2
        .value_kind:     hidden_group_size_y
      - .offset:         48
        .size:           2
        .value_kind:     hidden_group_size_z
      - .offset:         50
        .size:           2
        .value_kind:     hidden_remainder_x
      - .offset:         52
        .size:           2
        .value_kind:     hidden_remainder_y
      - .offset:         54
        .size:           2
        .value_kind:     hidden_remainder_z
      - .offset:         72
        .size:           8
        .value_kind:     hidden_global_offset_x
      - .offset:         80
        .size:           8
        .value_kind:     hidden_global_offset_y
      - .offset:         88
        .size:           8
        .value_kind:     hidden_global_offset_z
      - .offset:         96
        .size:           2
        .value_kind:     hidden_grid_dims
    .group_segment_fixed_size: 4224
    .kernarg_segment_align: 8
    .kernarg_segment_size: 288
    .language:       OpenCL C
    .language_version:
      - 2
      - 0
    .max_flat_workgroup_size: 256
    .name:           _Z6kernelI14exclusive_scanILN6hipcub18BlockScanAlgorithmE1EEN15benchmark_utils11custom_typeIddEELj256ELj8ELj100EEvPKT0_PS7_S7_
    .private_segment_fixed_size: 0
    .sgpr_count:     23
    .sgpr_spill_count: 0
    .symbol:         _Z6kernelI14exclusive_scanILN6hipcub18BlockScanAlgorithmE1EEN15benchmark_utils11custom_typeIddEELj256ELj8ELj100EEvPKT0_PS7_S7_.kd
    .uniform_work_group_size: 1
    .uses_dynamic_stack: false
    .vgpr_count:     63
    .vgpr_spill_count: 0
    .wavefront_size: 64
  - .agpr_count:     0
    .args:
      - .address_space:  global
        .offset:         0
        .size:           8
        .value_kind:     global_buffer
      - .address_space:  global
        .offset:         8
        .size:           8
        .value_kind:     global_buffer
      - .offset:         16
        .size:           4
        .value_kind:     by_value
      - .offset:         24
        .size:           4
        .value_kind:     hidden_block_count_x
      - .offset:         28
        .size:           4
        .value_kind:     hidden_block_count_y
      - .offset:         32
        .size:           4
        .value_kind:     hidden_block_count_z
      - .offset:         36
        .size:           2
        .value_kind:     hidden_group_size_x
      - .offset:         38
        .size:           2
        .value_kind:     hidden_group_size_y
      - .offset:         40
        .size:           2
        .value_kind:     hidden_group_size_z
      - .offset:         42
        .size:           2
        .value_kind:     hidden_remainder_x
      - .offset:         44
        .size:           2
        .value_kind:     hidden_remainder_y
      - .offset:         46
        .size:           2
        .value_kind:     hidden_remainder_z
      - .offset:         64
        .size:           8
        .value_kind:     hidden_global_offset_x
      - .offset:         72
        .size:           8
        .value_kind:     hidden_global_offset_y
      - .offset:         80
        .size:           8
        .value_kind:     hidden_global_offset_z
      - .offset:         88
        .size:           2
        .value_kind:     hidden_grid_dims
    .group_segment_fixed_size: 4
    .kernarg_segment_align: 8
    .kernarg_segment_size: 280
    .language:       OpenCL C
    .language_version:
      - 2
      - 0
    .max_flat_workgroup_size: 64
    .name:           _Z6kernelI14exclusive_scanILN6hipcub18BlockScanAlgorithmE0EEiLj64ELj1ELj100EEvPKT0_PS4_S4_
    .private_segment_fixed_size: 0
    .sgpr_count:     26
    .sgpr_spill_count: 0
    .symbol:         _Z6kernelI14exclusive_scanILN6hipcub18BlockScanAlgorithmE0EEiLj64ELj1ELj100EEvPKT0_PS4_S4_.kd
    .uniform_work_group_size: 1
    .uses_dynamic_stack: false
    .vgpr_count:     6
    .vgpr_spill_count: 0
    .wavefront_size: 64
  - .agpr_count:     0
    .args:
      - .address_space:  global
        .offset:         0
        .size:           8
        .value_kind:     global_buffer
      - .address_space:  global
        .offset:         8
        .size:           8
        .value_kind:     global_buffer
      - .offset:         16
        .size:           4
        .value_kind:     by_value
      - .offset:         24
        .size:           4
        .value_kind:     hidden_block_count_x
      - .offset:         28
        .size:           4
        .value_kind:     hidden_block_count_y
      - .offset:         32
        .size:           4
        .value_kind:     hidden_block_count_z
      - .offset:         36
        .size:           2
        .value_kind:     hidden_group_size_x
      - .offset:         38
        .size:           2
        .value_kind:     hidden_group_size_y
      - .offset:         40
        .size:           2
        .value_kind:     hidden_group_size_z
      - .offset:         42
        .size:           2
        .value_kind:     hidden_remainder_x
      - .offset:         44
        .size:           2
        .value_kind:     hidden_remainder_y
      - .offset:         46
        .size:           2
        .value_kind:     hidden_remainder_z
      - .offset:         64
        .size:           8
        .value_kind:     hidden_global_offset_x
      - .offset:         72
        .size:           8
        .value_kind:     hidden_global_offset_y
      - .offset:         80
        .size:           8
        .value_kind:     hidden_global_offset_z
      - .offset:         88
        .size:           2
        .value_kind:     hidden_grid_dims
    .group_segment_fixed_size: 4
    .kernarg_segment_align: 8
    .kernarg_segment_size: 280
    .language:       OpenCL C
    .language_version:
      - 2
      - 0
    .max_flat_workgroup_size: 64
    .name:           _Z6kernelI14exclusive_scanILN6hipcub18BlockScanAlgorithmE0EEiLj64ELj3ELj100EEvPKT0_PS4_S4_
    .private_segment_fixed_size: 0
    .sgpr_count:     27
    .sgpr_spill_count: 0
    .symbol:         _Z6kernelI14exclusive_scanILN6hipcub18BlockScanAlgorithmE0EEiLj64ELj3ELj100EEvPKT0_PS4_S4_.kd
    .uniform_work_group_size: 1
    .uses_dynamic_stack: false
    .vgpr_count:     18
    .vgpr_spill_count: 0
    .wavefront_size: 64
  - .agpr_count:     0
    .args:
      - .address_space:  global
        .offset:         0
        .size:           8
        .value_kind:     global_buffer
      - .address_space:  global
        .offset:         8
        .size:           8
        .value_kind:     global_buffer
      - .offset:         16
        .size:           4
        .value_kind:     by_value
      - .offset:         24
        .size:           4
        .value_kind:     hidden_block_count_x
      - .offset:         28
        .size:           4
        .value_kind:     hidden_block_count_y
      - .offset:         32
        .size:           4
        .value_kind:     hidden_block_count_z
      - .offset:         36
        .size:           2
        .value_kind:     hidden_group_size_x
      - .offset:         38
        .size:           2
        .value_kind:     hidden_group_size_y
      - .offset:         40
        .size:           2
        .value_kind:     hidden_group_size_z
      - .offset:         42
        .size:           2
        .value_kind:     hidden_remainder_x
      - .offset:         44
        .size:           2
        .value_kind:     hidden_remainder_y
      - .offset:         46
        .size:           2
        .value_kind:     hidden_remainder_z
      - .offset:         64
        .size:           8
        .value_kind:     hidden_global_offset_x
      - .offset:         72
        .size:           8
        .value_kind:     hidden_global_offset_y
      - .offset:         80
        .size:           8
        .value_kind:     hidden_global_offset_z
      - .offset:         88
        .size:           2
        .value_kind:     hidden_grid_dims
    .group_segment_fixed_size: 4
    .kernarg_segment_align: 8
    .kernarg_segment_size: 280
    .language:       OpenCL C
    .language_version:
      - 2
      - 0
    .max_flat_workgroup_size: 64
    .name:           _Z6kernelI14exclusive_scanILN6hipcub18BlockScanAlgorithmE0EEiLj64ELj4ELj100EEvPKT0_PS4_S4_
    .private_segment_fixed_size: 0
    .sgpr_count:     27
    .sgpr_spill_count: 0
    .symbol:         _Z6kernelI14exclusive_scanILN6hipcub18BlockScanAlgorithmE0EEiLj64ELj4ELj100EEvPKT0_PS4_S4_.kd
    .uniform_work_group_size: 1
    .uses_dynamic_stack: false
    .vgpr_count:     12
    .vgpr_spill_count: 0
    .wavefront_size: 64
  - .agpr_count:     0
    .args:
      - .address_space:  global
        .offset:         0
        .size:           8
        .value_kind:     global_buffer
      - .address_space:  global
        .offset:         8
        .size:           8
        .value_kind:     global_buffer
      - .offset:         16
        .size:           4
        .value_kind:     by_value
      - .offset:         24
        .size:           4
        .value_kind:     hidden_block_count_x
      - .offset:         28
        .size:           4
        .value_kind:     hidden_block_count_y
      - .offset:         32
        .size:           4
        .value_kind:     hidden_block_count_z
      - .offset:         36
        .size:           2
        .value_kind:     hidden_group_size_x
      - .offset:         38
        .size:           2
        .value_kind:     hidden_group_size_y
      - .offset:         40
        .size:           2
        .value_kind:     hidden_group_size_z
      - .offset:         42
        .size:           2
        .value_kind:     hidden_remainder_x
      - .offset:         44
        .size:           2
        .value_kind:     hidden_remainder_y
      - .offset:         46
        .size:           2
        .value_kind:     hidden_remainder_z
      - .offset:         64
        .size:           8
        .value_kind:     hidden_global_offset_x
      - .offset:         72
        .size:           8
        .value_kind:     hidden_global_offset_y
      - .offset:         80
        .size:           8
        .value_kind:     hidden_global_offset_z
      - .offset:         88
        .size:           2
        .value_kind:     hidden_grid_dims
    .group_segment_fixed_size: 4
    .kernarg_segment_align: 8
    .kernarg_segment_size: 280
    .language:       OpenCL C
    .language_version:
      - 2
      - 0
    .max_flat_workgroup_size: 64
    .name:           _Z6kernelI14exclusive_scanILN6hipcub18BlockScanAlgorithmE0EEiLj64ELj8ELj100EEvPKT0_PS4_S4_
    .private_segment_fixed_size: 0
    .sgpr_count:     27
    .sgpr_spill_count: 0
    .symbol:         _Z6kernelI14exclusive_scanILN6hipcub18BlockScanAlgorithmE0EEiLj64ELj8ELj100EEvPKT0_PS4_S4_.kd
    .uniform_work_group_size: 1
    .uses_dynamic_stack: false
    .vgpr_count:     20
    .vgpr_spill_count: 0
    .wavefront_size: 64
  - .agpr_count:     0
    .args:
      - .address_space:  global
        .offset:         0
        .size:           8
        .value_kind:     global_buffer
      - .address_space:  global
        .offset:         8
        .size:           8
        .value_kind:     global_buffer
      - .offset:         16
        .size:           4
        .value_kind:     by_value
      - .offset:         24
        .size:           4
        .value_kind:     hidden_block_count_x
      - .offset:         28
        .size:           4
        .value_kind:     hidden_block_count_y
      - .offset:         32
        .size:           4
        .value_kind:     hidden_block_count_z
      - .offset:         36
        .size:           2
        .value_kind:     hidden_group_size_x
      - .offset:         38
        .size:           2
        .value_kind:     hidden_group_size_y
      - .offset:         40
        .size:           2
        .value_kind:     hidden_group_size_z
      - .offset:         42
        .size:           2
        .value_kind:     hidden_remainder_x
      - .offset:         44
        .size:           2
        .value_kind:     hidden_remainder_y
      - .offset:         46
        .size:           2
        .value_kind:     hidden_remainder_z
      - .offset:         64
        .size:           8
        .value_kind:     hidden_global_offset_x
      - .offset:         72
        .size:           8
        .value_kind:     hidden_global_offset_y
      - .offset:         80
        .size:           8
        .value_kind:     hidden_global_offset_z
      - .offset:         88
        .size:           2
        .value_kind:     hidden_grid_dims
    .group_segment_fixed_size: 4
    .kernarg_segment_align: 8
    .kernarg_segment_size: 280
    .language:       OpenCL C
    .language_version:
      - 2
      - 0
    .max_flat_workgroup_size: 64
    .name:           _Z6kernelI14exclusive_scanILN6hipcub18BlockScanAlgorithmE0EEiLj64ELj11ELj100EEvPKT0_PS4_S4_
    .private_segment_fixed_size: 0
    .sgpr_count:     27
    .sgpr_spill_count: 0
    .symbol:         _Z6kernelI14exclusive_scanILN6hipcub18BlockScanAlgorithmE0EEiLj64ELj11ELj100EEvPKT0_PS4_S4_.kd
    .uniform_work_group_size: 1
    .uses_dynamic_stack: false
    .vgpr_count:     42
    .vgpr_spill_count: 0
    .wavefront_size: 64
  - .agpr_count:     0
    .args:
      - .address_space:  global
        .offset:         0
        .size:           8
        .value_kind:     global_buffer
      - .address_space:  global
        .offset:         8
        .size:           8
        .value_kind:     global_buffer
      - .offset:         16
        .size:           4
        .value_kind:     by_value
      - .offset:         24
        .size:           4
        .value_kind:     hidden_block_count_x
      - .offset:         28
        .size:           4
        .value_kind:     hidden_block_count_y
      - .offset:         32
        .size:           4
        .value_kind:     hidden_block_count_z
      - .offset:         36
        .size:           2
        .value_kind:     hidden_group_size_x
      - .offset:         38
        .size:           2
        .value_kind:     hidden_group_size_y
      - .offset:         40
        .size:           2
        .value_kind:     hidden_group_size_z
      - .offset:         42
        .size:           2
        .value_kind:     hidden_remainder_x
      - .offset:         44
        .size:           2
        .value_kind:     hidden_remainder_y
      - .offset:         46
        .size:           2
        .value_kind:     hidden_remainder_z
      - .offset:         64
        .size:           8
        .value_kind:     hidden_global_offset_x
      - .offset:         72
        .size:           8
        .value_kind:     hidden_global_offset_y
      - .offset:         80
        .size:           8
        .value_kind:     hidden_global_offset_z
      - .offset:         88
        .size:           2
        .value_kind:     hidden_grid_dims
    .group_segment_fixed_size: 4
    .kernarg_segment_align: 8
    .kernarg_segment_size: 280
    .language:       OpenCL C
    .language_version:
      - 2
      - 0
    .max_flat_workgroup_size: 64
    .name:           _Z6kernelI14exclusive_scanILN6hipcub18BlockScanAlgorithmE0EEiLj64ELj16ELj100EEvPKT0_PS4_S4_
    .private_segment_fixed_size: 0
    .sgpr_count:     27
    .sgpr_spill_count: 0
    .symbol:         _Z6kernelI14exclusive_scanILN6hipcub18BlockScanAlgorithmE0EEiLj64ELj16ELj100EEvPKT0_PS4_S4_.kd
    .uniform_work_group_size: 1
    .uses_dynamic_stack: false
    .vgpr_count:     29
    .vgpr_spill_count: 0
    .wavefront_size: 64
  - .agpr_count:     0
    .args:
      - .address_space:  global
        .offset:         0
        .size:           8
        .value_kind:     global_buffer
      - .address_space:  global
        .offset:         8
        .size:           8
        .value_kind:     global_buffer
      - .offset:         16
        .size:           4
        .value_kind:     by_value
      - .offset:         24
        .size:           4
        .value_kind:     hidden_block_count_x
      - .offset:         28
        .size:           4
        .value_kind:     hidden_block_count_y
      - .offset:         32
        .size:           4
        .value_kind:     hidden_block_count_z
      - .offset:         36
        .size:           2
        .value_kind:     hidden_group_size_x
      - .offset:         38
        .size:           2
        .value_kind:     hidden_group_size_y
      - .offset:         40
        .size:           2
        .value_kind:     hidden_group_size_z
      - .offset:         42
        .size:           2
        .value_kind:     hidden_remainder_x
      - .offset:         44
        .size:           2
        .value_kind:     hidden_remainder_y
      - .offset:         46
        .size:           2
        .value_kind:     hidden_remainder_z
      - .offset:         64
        .size:           8
        .value_kind:     hidden_global_offset_x
      - .offset:         72
        .size:           8
        .value_kind:     hidden_global_offset_y
      - .offset:         80
        .size:           8
        .value_kind:     hidden_global_offset_z
      - .offset:         88
        .size:           2
        .value_kind:     hidden_grid_dims
    .group_segment_fixed_size: 4
    .kernarg_segment_align: 8
    .kernarg_segment_size: 280
    .language:       OpenCL C
    .language_version:
      - 2
      - 0
    .max_flat_workgroup_size: 64
    .name:           _Z6kernelI14exclusive_scanILN6hipcub18BlockScanAlgorithmE0EEfLj64ELj1ELj100EEvPKT0_PS4_S4_
    .private_segment_fixed_size: 0
    .sgpr_count:     26
    .sgpr_spill_count: 0
    .symbol:         _Z6kernelI14exclusive_scanILN6hipcub18BlockScanAlgorithmE0EEfLj64ELj1ELj100EEvPKT0_PS4_S4_.kd
    .uniform_work_group_size: 1
    .uses_dynamic_stack: false
    .vgpr_count:     6
    .vgpr_spill_count: 0
    .wavefront_size: 64
  - .agpr_count:     0
    .args:
      - .address_space:  global
        .offset:         0
        .size:           8
        .value_kind:     global_buffer
      - .address_space:  global
        .offset:         8
        .size:           8
        .value_kind:     global_buffer
      - .offset:         16
        .size:           4
        .value_kind:     by_value
      - .offset:         24
        .size:           4
        .value_kind:     hidden_block_count_x
      - .offset:         28
        .size:           4
        .value_kind:     hidden_block_count_y
      - .offset:         32
        .size:           4
        .value_kind:     hidden_block_count_z
      - .offset:         36
        .size:           2
        .value_kind:     hidden_group_size_x
      - .offset:         38
        .size:           2
        .value_kind:     hidden_group_size_y
      - .offset:         40
        .size:           2
        .value_kind:     hidden_group_size_z
      - .offset:         42
        .size:           2
        .value_kind:     hidden_remainder_x
      - .offset:         44
        .size:           2
        .value_kind:     hidden_remainder_y
      - .offset:         46
        .size:           2
        .value_kind:     hidden_remainder_z
      - .offset:         64
        .size:           8
        .value_kind:     hidden_global_offset_x
      - .offset:         72
        .size:           8
        .value_kind:     hidden_global_offset_y
      - .offset:         80
        .size:           8
        .value_kind:     hidden_global_offset_z
      - .offset:         88
        .size:           2
        .value_kind:     hidden_grid_dims
    .group_segment_fixed_size: 4
    .kernarg_segment_align: 8
    .kernarg_segment_size: 280
    .language:       OpenCL C
    .language_version:
      - 2
      - 0
    .max_flat_workgroup_size: 64
    .name:           _Z6kernelI14exclusive_scanILN6hipcub18BlockScanAlgorithmE0EEfLj64ELj3ELj100EEvPKT0_PS4_S4_
    .private_segment_fixed_size: 0
    .sgpr_count:     27
    .sgpr_spill_count: 0
    .symbol:         _Z6kernelI14exclusive_scanILN6hipcub18BlockScanAlgorithmE0EEfLj64ELj3ELj100EEvPKT0_PS4_S4_.kd
    .uniform_work_group_size: 1
    .uses_dynamic_stack: false
    .vgpr_count:     18
    .vgpr_spill_count: 0
    .wavefront_size: 64
  - .agpr_count:     0
    .args:
      - .address_space:  global
        .offset:         0
        .size:           8
        .value_kind:     global_buffer
      - .address_space:  global
        .offset:         8
        .size:           8
        .value_kind:     global_buffer
      - .offset:         16
        .size:           4
        .value_kind:     by_value
      - .offset:         24
        .size:           4
        .value_kind:     hidden_block_count_x
      - .offset:         28
        .size:           4
        .value_kind:     hidden_block_count_y
      - .offset:         32
        .size:           4
        .value_kind:     hidden_block_count_z
      - .offset:         36
        .size:           2
        .value_kind:     hidden_group_size_x
      - .offset:         38
        .size:           2
        .value_kind:     hidden_group_size_y
      - .offset:         40
        .size:           2
        .value_kind:     hidden_group_size_z
      - .offset:         42
        .size:           2
        .value_kind:     hidden_remainder_x
      - .offset:         44
        .size:           2
        .value_kind:     hidden_remainder_y
      - .offset:         46
        .size:           2
        .value_kind:     hidden_remainder_z
      - .offset:         64
        .size:           8
        .value_kind:     hidden_global_offset_x
      - .offset:         72
        .size:           8
        .value_kind:     hidden_global_offset_y
      - .offset:         80
        .size:           8
        .value_kind:     hidden_global_offset_z
      - .offset:         88
        .size:           2
        .value_kind:     hidden_grid_dims
    .group_segment_fixed_size: 4
    .kernarg_segment_align: 8
    .kernarg_segment_size: 280
    .language:       OpenCL C
    .language_version:
      - 2
      - 0
    .max_flat_workgroup_size: 64
    .name:           _Z6kernelI14exclusive_scanILN6hipcub18BlockScanAlgorithmE0EEfLj64ELj4ELj100EEvPKT0_PS4_S4_
    .private_segment_fixed_size: 0
    .sgpr_count:     27
    .sgpr_spill_count: 0
    .symbol:         _Z6kernelI14exclusive_scanILN6hipcub18BlockScanAlgorithmE0EEfLj64ELj4ELj100EEvPKT0_PS4_S4_.kd
    .uniform_work_group_size: 1
    .uses_dynamic_stack: false
    .vgpr_count:     12
    .vgpr_spill_count: 0
    .wavefront_size: 64
  - .agpr_count:     0
    .args:
      - .address_space:  global
        .offset:         0
        .size:           8
        .value_kind:     global_buffer
      - .address_space:  global
        .offset:         8
        .size:           8
        .value_kind:     global_buffer
      - .offset:         16
        .size:           4
        .value_kind:     by_value
      - .offset:         24
        .size:           4
        .value_kind:     hidden_block_count_x
      - .offset:         28
        .size:           4
        .value_kind:     hidden_block_count_y
      - .offset:         32
        .size:           4
        .value_kind:     hidden_block_count_z
      - .offset:         36
        .size:           2
        .value_kind:     hidden_group_size_x
      - .offset:         38
        .size:           2
        .value_kind:     hidden_group_size_y
      - .offset:         40
        .size:           2
        .value_kind:     hidden_group_size_z
      - .offset:         42
        .size:           2
        .value_kind:     hidden_remainder_x
      - .offset:         44
        .size:           2
        .value_kind:     hidden_remainder_y
      - .offset:         46
        .size:           2
        .value_kind:     hidden_remainder_z
      - .offset:         64
        .size:           8
        .value_kind:     hidden_global_offset_x
      - .offset:         72
        .size:           8
        .value_kind:     hidden_global_offset_y
      - .offset:         80
        .size:           8
        .value_kind:     hidden_global_offset_z
      - .offset:         88
        .size:           2
        .value_kind:     hidden_grid_dims
    .group_segment_fixed_size: 4
    .kernarg_segment_align: 8
    .kernarg_segment_size: 280
    .language:       OpenCL C
    .language_version:
      - 2
      - 0
    .max_flat_workgroup_size: 64
    .name:           _Z6kernelI14exclusive_scanILN6hipcub18BlockScanAlgorithmE0EEfLj64ELj8ELj100EEvPKT0_PS4_S4_
    .private_segment_fixed_size: 0
    .sgpr_count:     27
    .sgpr_spill_count: 0
    .symbol:         _Z6kernelI14exclusive_scanILN6hipcub18BlockScanAlgorithmE0EEfLj64ELj8ELj100EEvPKT0_PS4_S4_.kd
    .uniform_work_group_size: 1
    .uses_dynamic_stack: false
    .vgpr_count:     20
    .vgpr_spill_count: 0
    .wavefront_size: 64
  - .agpr_count:     0
    .args:
      - .address_space:  global
        .offset:         0
        .size:           8
        .value_kind:     global_buffer
      - .address_space:  global
        .offset:         8
        .size:           8
        .value_kind:     global_buffer
      - .offset:         16
        .size:           4
        .value_kind:     by_value
      - .offset:         24
        .size:           4
        .value_kind:     hidden_block_count_x
      - .offset:         28
        .size:           4
        .value_kind:     hidden_block_count_y
      - .offset:         32
        .size:           4
        .value_kind:     hidden_block_count_z
      - .offset:         36
        .size:           2
        .value_kind:     hidden_group_size_x
      - .offset:         38
        .size:           2
        .value_kind:     hidden_group_size_y
      - .offset:         40
        .size:           2
        .value_kind:     hidden_group_size_z
      - .offset:         42
        .size:           2
        .value_kind:     hidden_remainder_x
      - .offset:         44
        .size:           2
        .value_kind:     hidden_remainder_y
      - .offset:         46
        .size:           2
        .value_kind:     hidden_remainder_z
      - .offset:         64
        .size:           8
        .value_kind:     hidden_global_offset_x
      - .offset:         72
        .size:           8
        .value_kind:     hidden_global_offset_y
      - .offset:         80
        .size:           8
        .value_kind:     hidden_global_offset_z
      - .offset:         88
        .size:           2
        .value_kind:     hidden_grid_dims
    .group_segment_fixed_size: 4
    .kernarg_segment_align: 8
    .kernarg_segment_size: 280
    .language:       OpenCL C
    .language_version:
      - 2
      - 0
    .max_flat_workgroup_size: 64
    .name:           _Z6kernelI14exclusive_scanILN6hipcub18BlockScanAlgorithmE0EEfLj64ELj11ELj100EEvPKT0_PS4_S4_
    .private_segment_fixed_size: 0
    .sgpr_count:     27
    .sgpr_spill_count: 0
    .symbol:         _Z6kernelI14exclusive_scanILN6hipcub18BlockScanAlgorithmE0EEfLj64ELj11ELj100EEvPKT0_PS4_S4_.kd
    .uniform_work_group_size: 1
    .uses_dynamic_stack: false
    .vgpr_count:     42
    .vgpr_spill_count: 0
    .wavefront_size: 64
  - .agpr_count:     0
    .args:
      - .address_space:  global
        .offset:         0
        .size:           8
        .value_kind:     global_buffer
      - .address_space:  global
        .offset:         8
        .size:           8
        .value_kind:     global_buffer
      - .offset:         16
        .size:           4
        .value_kind:     by_value
      - .offset:         24
        .size:           4
        .value_kind:     hidden_block_count_x
      - .offset:         28
        .size:           4
        .value_kind:     hidden_block_count_y
      - .offset:         32
        .size:           4
        .value_kind:     hidden_block_count_z
      - .offset:         36
        .size:           2
        .value_kind:     hidden_group_size_x
      - .offset:         38
        .size:           2
        .value_kind:     hidden_group_size_y
      - .offset:         40
        .size:           2
        .value_kind:     hidden_group_size_z
      - .offset:         42
        .size:           2
        .value_kind:     hidden_remainder_x
      - .offset:         44
        .size:           2
        .value_kind:     hidden_remainder_y
      - .offset:         46
        .size:           2
        .value_kind:     hidden_remainder_z
      - .offset:         64
        .size:           8
        .value_kind:     hidden_global_offset_x
      - .offset:         72
        .size:           8
        .value_kind:     hidden_global_offset_y
      - .offset:         80
        .size:           8
        .value_kind:     hidden_global_offset_z
      - .offset:         88
        .size:           2
        .value_kind:     hidden_grid_dims
    .group_segment_fixed_size: 4
    .kernarg_segment_align: 8
    .kernarg_segment_size: 280
    .language:       OpenCL C
    .language_version:
      - 2
      - 0
    .max_flat_workgroup_size: 64
    .name:           _Z6kernelI14exclusive_scanILN6hipcub18BlockScanAlgorithmE0EEfLj64ELj16ELj100EEvPKT0_PS4_S4_
    .private_segment_fixed_size: 0
    .sgpr_count:     27
    .sgpr_spill_count: 0
    .symbol:         _Z6kernelI14exclusive_scanILN6hipcub18BlockScanAlgorithmE0EEfLj64ELj16ELj100EEvPKT0_PS4_S4_.kd
    .uniform_work_group_size: 1
    .uses_dynamic_stack: false
    .vgpr_count:     29
    .vgpr_spill_count: 0
    .wavefront_size: 64
  - .agpr_count:     0
    .args:
      - .address_space:  global
        .offset:         0
        .size:           8
        .value_kind:     global_buffer
      - .address_space:  global
        .offset:         8
        .size:           8
        .value_kind:     global_buffer
      - .offset:         16
        .size:           8
        .value_kind:     by_value
      - .offset:         24
        .size:           4
        .value_kind:     hidden_block_count_x
      - .offset:         28
        .size:           4
        .value_kind:     hidden_block_count_y
      - .offset:         32
        .size:           4
        .value_kind:     hidden_block_count_z
      - .offset:         36
        .size:           2
        .value_kind:     hidden_group_size_x
      - .offset:         38
        .size:           2
        .value_kind:     hidden_group_size_y
      - .offset:         40
        .size:           2
        .value_kind:     hidden_group_size_z
      - .offset:         42
        .size:           2
        .value_kind:     hidden_remainder_x
      - .offset:         44
        .size:           2
        .value_kind:     hidden_remainder_y
      - .offset:         46
        .size:           2
        .value_kind:     hidden_remainder_z
      - .offset:         64
        .size:           8
        .value_kind:     hidden_global_offset_x
      - .offset:         72
        .size:           8
        .value_kind:     hidden_global_offset_y
      - .offset:         80
        .size:           8
        .value_kind:     hidden_global_offset_z
      - .offset:         88
        .size:           2
        .value_kind:     hidden_grid_dims
    .group_segment_fixed_size: 8
    .kernarg_segment_align: 8
    .kernarg_segment_size: 280
    .language:       OpenCL C
    .language_version:
      - 2
      - 0
    .max_flat_workgroup_size: 64
    .name:           _Z6kernelI14exclusive_scanILN6hipcub18BlockScanAlgorithmE0EEdLj64ELj1ELj100EEvPKT0_PS4_S4_
    .private_segment_fixed_size: 0
    .sgpr_count:     27
    .sgpr_spill_count: 0
    .symbol:         _Z6kernelI14exclusive_scanILN6hipcub18BlockScanAlgorithmE0EEdLj64ELj1ELj100EEvPKT0_PS4_S4_.kd
    .uniform_work_group_size: 1
    .uses_dynamic_stack: false
    .vgpr_count:     12
    .vgpr_spill_count: 0
    .wavefront_size: 64
  - .agpr_count:     0
    .args:
      - .address_space:  global
        .offset:         0
        .size:           8
        .value_kind:     global_buffer
      - .address_space:  global
        .offset:         8
        .size:           8
        .value_kind:     global_buffer
      - .offset:         16
        .size:           8
        .value_kind:     by_value
      - .offset:         24
        .size:           4
        .value_kind:     hidden_block_count_x
      - .offset:         28
        .size:           4
        .value_kind:     hidden_block_count_y
      - .offset:         32
        .size:           4
        .value_kind:     hidden_block_count_z
      - .offset:         36
        .size:           2
        .value_kind:     hidden_group_size_x
      - .offset:         38
        .size:           2
        .value_kind:     hidden_group_size_y
      - .offset:         40
        .size:           2
        .value_kind:     hidden_group_size_z
      - .offset:         42
        .size:           2
        .value_kind:     hidden_remainder_x
      - .offset:         44
        .size:           2
        .value_kind:     hidden_remainder_y
      - .offset:         46
        .size:           2
        .value_kind:     hidden_remainder_z
      - .offset:         64
        .size:           8
        .value_kind:     hidden_global_offset_x
      - .offset:         72
        .size:           8
        .value_kind:     hidden_global_offset_y
      - .offset:         80
        .size:           8
        .value_kind:     hidden_global_offset_z
      - .offset:         88
        .size:           2
        .value_kind:     hidden_grid_dims
    .group_segment_fixed_size: 8
    .kernarg_segment_align: 8
    .kernarg_segment_size: 280
    .language:       OpenCL C
    .language_version:
      - 2
      - 0
    .max_flat_workgroup_size: 64
    .name:           _Z6kernelI14exclusive_scanILN6hipcub18BlockScanAlgorithmE0EEdLj64ELj3ELj100EEvPKT0_PS4_S4_
    .private_segment_fixed_size: 0
    .sgpr_count:     29
    .sgpr_spill_count: 0
    .symbol:         _Z6kernelI14exclusive_scanILN6hipcub18BlockScanAlgorithmE0EEdLj64ELj3ELj100EEvPKT0_PS4_S4_.kd
    .uniform_work_group_size: 1
    .uses_dynamic_stack: false
    .vgpr_count:     20
    .vgpr_spill_count: 0
    .wavefront_size: 64
  - .agpr_count:     0
    .args:
      - .address_space:  global
        .offset:         0
        .size:           8
        .value_kind:     global_buffer
      - .address_space:  global
        .offset:         8
        .size:           8
        .value_kind:     global_buffer
      - .offset:         16
        .size:           8
        .value_kind:     by_value
      - .offset:         24
        .size:           4
        .value_kind:     hidden_block_count_x
      - .offset:         28
        .size:           4
        .value_kind:     hidden_block_count_y
      - .offset:         32
        .size:           4
        .value_kind:     hidden_block_count_z
      - .offset:         36
        .size:           2
        .value_kind:     hidden_group_size_x
      - .offset:         38
        .size:           2
        .value_kind:     hidden_group_size_y
      - .offset:         40
        .size:           2
        .value_kind:     hidden_group_size_z
      - .offset:         42
        .size:           2
        .value_kind:     hidden_remainder_x
      - .offset:         44
        .size:           2
        .value_kind:     hidden_remainder_y
      - .offset:         46
        .size:           2
        .value_kind:     hidden_remainder_z
      - .offset:         64
        .size:           8
        .value_kind:     hidden_global_offset_x
      - .offset:         72
        .size:           8
        .value_kind:     hidden_global_offset_y
      - .offset:         80
        .size:           8
        .value_kind:     hidden_global_offset_z
      - .offset:         88
        .size:           2
        .value_kind:     hidden_grid_dims
    .group_segment_fixed_size: 8
    .kernarg_segment_align: 8
    .kernarg_segment_size: 280
    .language:       OpenCL C
    .language_version:
      - 2
      - 0
    .max_flat_workgroup_size: 64
    .name:           _Z6kernelI14exclusive_scanILN6hipcub18BlockScanAlgorithmE0EEdLj64ELj4ELj100EEvPKT0_PS4_S4_
    .private_segment_fixed_size: 0
    .sgpr_count:     29
    .sgpr_spill_count: 0
    .symbol:         _Z6kernelI14exclusive_scanILN6hipcub18BlockScanAlgorithmE0EEdLj64ELj4ELj100EEvPKT0_PS4_S4_.kd
    .uniform_work_group_size: 1
    .uses_dynamic_stack: false
    .vgpr_count:     17
    .vgpr_spill_count: 0
    .wavefront_size: 64
  - .agpr_count:     0
    .args:
      - .address_space:  global
        .offset:         0
        .size:           8
        .value_kind:     global_buffer
      - .address_space:  global
        .offset:         8
        .size:           8
        .value_kind:     global_buffer
      - .offset:         16
        .size:           8
        .value_kind:     by_value
      - .offset:         24
        .size:           4
        .value_kind:     hidden_block_count_x
      - .offset:         28
        .size:           4
        .value_kind:     hidden_block_count_y
      - .offset:         32
        .size:           4
        .value_kind:     hidden_block_count_z
      - .offset:         36
        .size:           2
        .value_kind:     hidden_group_size_x
      - .offset:         38
        .size:           2
        .value_kind:     hidden_group_size_y
      - .offset:         40
        .size:           2
        .value_kind:     hidden_group_size_z
      - .offset:         42
        .size:           2
        .value_kind:     hidden_remainder_x
      - .offset:         44
        .size:           2
        .value_kind:     hidden_remainder_y
      - .offset:         46
        .size:           2
        .value_kind:     hidden_remainder_z
      - .offset:         64
        .size:           8
        .value_kind:     hidden_global_offset_x
      - .offset:         72
        .size:           8
        .value_kind:     hidden_global_offset_y
      - .offset:         80
        .size:           8
        .value_kind:     hidden_global_offset_z
      - .offset:         88
        .size:           2
        .value_kind:     hidden_grid_dims
    .group_segment_fixed_size: 8
    .kernarg_segment_align: 8
    .kernarg_segment_size: 280
    .language:       OpenCL C
    .language_version:
      - 2
      - 0
    .max_flat_workgroup_size: 64
    .name:           _Z6kernelI14exclusive_scanILN6hipcub18BlockScanAlgorithmE0EEdLj64ELj8ELj100EEvPKT0_PS4_S4_
    .private_segment_fixed_size: 0
    .sgpr_count:     29
    .sgpr_spill_count: 0
    .symbol:         _Z6kernelI14exclusive_scanILN6hipcub18BlockScanAlgorithmE0EEdLj64ELj8ELj100EEvPKT0_PS4_S4_.kd
    .uniform_work_group_size: 1
    .uses_dynamic_stack: false
    .vgpr_count:     25
    .vgpr_spill_count: 0
    .wavefront_size: 64
  - .agpr_count:     0
    .args:
      - .address_space:  global
        .offset:         0
        .size:           8
        .value_kind:     global_buffer
      - .address_space:  global
        .offset:         8
        .size:           8
        .value_kind:     global_buffer
      - .offset:         16
        .size:           8
        .value_kind:     by_value
      - .offset:         24
        .size:           4
        .value_kind:     hidden_block_count_x
      - .offset:         28
        .size:           4
        .value_kind:     hidden_block_count_y
      - .offset:         32
        .size:           4
        .value_kind:     hidden_block_count_z
      - .offset:         36
        .size:           2
        .value_kind:     hidden_group_size_x
      - .offset:         38
        .size:           2
        .value_kind:     hidden_group_size_y
      - .offset:         40
        .size:           2
        .value_kind:     hidden_group_size_z
      - .offset:         42
        .size:           2
        .value_kind:     hidden_remainder_x
      - .offset:         44
        .size:           2
        .value_kind:     hidden_remainder_y
      - .offset:         46
        .size:           2
        .value_kind:     hidden_remainder_z
      - .offset:         64
        .size:           8
        .value_kind:     hidden_global_offset_x
      - .offset:         72
        .size:           8
        .value_kind:     hidden_global_offset_y
      - .offset:         80
        .size:           8
        .value_kind:     hidden_global_offset_z
      - .offset:         88
        .size:           2
        .value_kind:     hidden_grid_dims
    .group_segment_fixed_size: 8
    .kernarg_segment_align: 8
    .kernarg_segment_size: 280
    .language:       OpenCL C
    .language_version:
      - 2
      - 0
    .max_flat_workgroup_size: 64
    .name:           _Z6kernelI14exclusive_scanILN6hipcub18BlockScanAlgorithmE0EEdLj64ELj11ELj100EEvPKT0_PS4_S4_
    .private_segment_fixed_size: 0
    .sgpr_count:     29
    .sgpr_spill_count: 0
    .symbol:         _Z6kernelI14exclusive_scanILN6hipcub18BlockScanAlgorithmE0EEdLj64ELj11ELj100EEvPKT0_PS4_S4_.kd
    .uniform_work_group_size: 1
    .uses_dynamic_stack: false
    .vgpr_count:     52
    .vgpr_spill_count: 0
    .wavefront_size: 64
  - .agpr_count:     0
    .args:
      - .address_space:  global
        .offset:         0
        .size:           8
        .value_kind:     global_buffer
      - .address_space:  global
        .offset:         8
        .size:           8
        .value_kind:     global_buffer
      - .offset:         16
        .size:           8
        .value_kind:     by_value
      - .offset:         24
        .size:           4
        .value_kind:     hidden_block_count_x
      - .offset:         28
        .size:           4
        .value_kind:     hidden_block_count_y
      - .offset:         32
        .size:           4
        .value_kind:     hidden_block_count_z
      - .offset:         36
        .size:           2
        .value_kind:     hidden_group_size_x
      - .offset:         38
        .size:           2
        .value_kind:     hidden_group_size_y
      - .offset:         40
        .size:           2
        .value_kind:     hidden_group_size_z
      - .offset:         42
        .size:           2
        .value_kind:     hidden_remainder_x
      - .offset:         44
        .size:           2
        .value_kind:     hidden_remainder_y
      - .offset:         46
        .size:           2
        .value_kind:     hidden_remainder_z
      - .offset:         64
        .size:           8
        .value_kind:     hidden_global_offset_x
      - .offset:         72
        .size:           8
        .value_kind:     hidden_global_offset_y
      - .offset:         80
        .size:           8
        .value_kind:     hidden_global_offset_z
      - .offset:         88
        .size:           2
        .value_kind:     hidden_grid_dims
    .group_segment_fixed_size: 8
    .kernarg_segment_align: 8
    .kernarg_segment_size: 280
    .language:       OpenCL C
    .language_version:
      - 2
      - 0
    .max_flat_workgroup_size: 64
    .name:           _Z6kernelI14exclusive_scanILN6hipcub18BlockScanAlgorithmE0EEdLj64ELj16ELj100EEvPKT0_PS4_S4_
    .private_segment_fixed_size: 0
    .sgpr_count:     29
    .sgpr_spill_count: 0
    .symbol:         _Z6kernelI14exclusive_scanILN6hipcub18BlockScanAlgorithmE0EEdLj64ELj16ELj100EEvPKT0_PS4_S4_.kd
    .uniform_work_group_size: 1
    .uses_dynamic_stack: false
    .vgpr_count:     49
    .vgpr_spill_count: 0
    .wavefront_size: 64
  - .agpr_count:     0
    .args:
      - .address_space:  global
        .offset:         0
        .size:           8
        .value_kind:     global_buffer
      - .address_space:  global
        .offset:         8
        .size:           8
        .value_kind:     global_buffer
      - .offset:         16
        .size:           1
        .value_kind:     by_value
      - .offset:         24
        .size:           4
        .value_kind:     hidden_block_count_x
      - .offset:         28
        .size:           4
        .value_kind:     hidden_block_count_y
      - .offset:         32
        .size:           4
        .value_kind:     hidden_block_count_z
      - .offset:         36
        .size:           2
        .value_kind:     hidden_group_size_x
      - .offset:         38
        .size:           2
        .value_kind:     hidden_group_size_y
      - .offset:         40
        .size:           2
        .value_kind:     hidden_group_size_z
      - .offset:         42
        .size:           2
        .value_kind:     hidden_remainder_x
      - .offset:         44
        .size:           2
        .value_kind:     hidden_remainder_y
      - .offset:         46
        .size:           2
        .value_kind:     hidden_remainder_z
      - .offset:         64
        .size:           8
        .value_kind:     hidden_global_offset_x
      - .offset:         72
        .size:           8
        .value_kind:     hidden_global_offset_y
      - .offset:         80
        .size:           8
        .value_kind:     hidden_global_offset_z
      - .offset:         88
        .size:           2
        .value_kind:     hidden_grid_dims
    .group_segment_fixed_size: 1
    .kernarg_segment_align: 8
    .kernarg_segment_size: 280
    .language:       OpenCL C
    .language_version:
      - 2
      - 0
    .max_flat_workgroup_size: 64
    .name:           _Z6kernelI14exclusive_scanILN6hipcub18BlockScanAlgorithmE0EEhLj64ELj1ELj100EEvPKT0_PS4_S4_
    .private_segment_fixed_size: 0
    .sgpr_count:     26
    .sgpr_spill_count: 0
    .symbol:         _Z6kernelI14exclusive_scanILN6hipcub18BlockScanAlgorithmE0EEhLj64ELj1ELj100EEvPKT0_PS4_S4_.kd
    .uniform_work_group_size: 1
    .uses_dynamic_stack: false
    .vgpr_count:     6
    .vgpr_spill_count: 0
    .wavefront_size: 64
  - .agpr_count:     0
    .args:
      - .address_space:  global
        .offset:         0
        .size:           8
        .value_kind:     global_buffer
      - .address_space:  global
        .offset:         8
        .size:           8
        .value_kind:     global_buffer
      - .offset:         16
        .size:           1
        .value_kind:     by_value
      - .offset:         24
        .size:           4
        .value_kind:     hidden_block_count_x
      - .offset:         28
        .size:           4
        .value_kind:     hidden_block_count_y
      - .offset:         32
        .size:           4
        .value_kind:     hidden_block_count_z
      - .offset:         36
        .size:           2
        .value_kind:     hidden_group_size_x
      - .offset:         38
        .size:           2
        .value_kind:     hidden_group_size_y
      - .offset:         40
        .size:           2
        .value_kind:     hidden_group_size_z
      - .offset:         42
        .size:           2
        .value_kind:     hidden_remainder_x
      - .offset:         44
        .size:           2
        .value_kind:     hidden_remainder_y
      - .offset:         46
        .size:           2
        .value_kind:     hidden_remainder_z
      - .offset:         64
        .size:           8
        .value_kind:     hidden_global_offset_x
      - .offset:         72
        .size:           8
        .value_kind:     hidden_global_offset_y
      - .offset:         80
        .size:           8
        .value_kind:     hidden_global_offset_z
      - .offset:         88
        .size:           2
        .value_kind:     hidden_grid_dims
    .group_segment_fixed_size: 1
    .kernarg_segment_align: 8
    .kernarg_segment_size: 280
    .language:       OpenCL C
    .language_version:
      - 2
      - 0
    .max_flat_workgroup_size: 64
    .name:           _Z6kernelI14exclusive_scanILN6hipcub18BlockScanAlgorithmE0EEhLj64ELj3ELj100EEvPKT0_PS4_S4_
    .private_segment_fixed_size: 0
    .sgpr_count:     28
    .sgpr_spill_count: 0
    .symbol:         _Z6kernelI14exclusive_scanILN6hipcub18BlockScanAlgorithmE0EEhLj64ELj3ELj100EEvPKT0_PS4_S4_.kd
    .uniform_work_group_size: 1
    .uses_dynamic_stack: false
    .vgpr_count:     14
    .vgpr_spill_count: 0
    .wavefront_size: 64
  - .agpr_count:     0
    .args:
      - .address_space:  global
        .offset:         0
        .size:           8
        .value_kind:     global_buffer
      - .address_space:  global
        .offset:         8
        .size:           8
        .value_kind:     global_buffer
      - .offset:         16
        .size:           1
        .value_kind:     by_value
      - .offset:         24
        .size:           4
        .value_kind:     hidden_block_count_x
      - .offset:         28
        .size:           4
        .value_kind:     hidden_block_count_y
      - .offset:         32
        .size:           4
        .value_kind:     hidden_block_count_z
      - .offset:         36
        .size:           2
        .value_kind:     hidden_group_size_x
      - .offset:         38
        .size:           2
        .value_kind:     hidden_group_size_y
      - .offset:         40
        .size:           2
        .value_kind:     hidden_group_size_z
      - .offset:         42
        .size:           2
        .value_kind:     hidden_remainder_x
      - .offset:         44
        .size:           2
        .value_kind:     hidden_remainder_y
      - .offset:         46
        .size:           2
        .value_kind:     hidden_remainder_z
      - .offset:         64
        .size:           8
        .value_kind:     hidden_global_offset_x
      - .offset:         72
        .size:           8
        .value_kind:     hidden_global_offset_y
      - .offset:         80
        .size:           8
        .value_kind:     hidden_global_offset_z
      - .offset:         88
        .size:           2
        .value_kind:     hidden_grid_dims
    .group_segment_fixed_size: 1
    .kernarg_segment_align: 8
    .kernarg_segment_size: 280
    .language:       OpenCL C
    .language_version:
      - 2
      - 0
    .max_flat_workgroup_size: 64
    .name:           _Z6kernelI14exclusive_scanILN6hipcub18BlockScanAlgorithmE0EEhLj64ELj4ELj100EEvPKT0_PS4_S4_
    .private_segment_fixed_size: 0
    .sgpr_count:     27
    .sgpr_spill_count: 0
    .symbol:         _Z6kernelI14exclusive_scanILN6hipcub18BlockScanAlgorithmE0EEhLj64ELj4ELj100EEvPKT0_PS4_S4_.kd
    .uniform_work_group_size: 1
    .uses_dynamic_stack: false
    .vgpr_count:     9
    .vgpr_spill_count: 0
    .wavefront_size: 64
  - .agpr_count:     0
    .args:
      - .address_space:  global
        .offset:         0
        .size:           8
        .value_kind:     global_buffer
      - .address_space:  global
        .offset:         8
        .size:           8
        .value_kind:     global_buffer
      - .offset:         16
        .size:           1
        .value_kind:     by_value
      - .offset:         24
        .size:           4
        .value_kind:     hidden_block_count_x
      - .offset:         28
        .size:           4
        .value_kind:     hidden_block_count_y
      - .offset:         32
        .size:           4
        .value_kind:     hidden_block_count_z
      - .offset:         36
        .size:           2
        .value_kind:     hidden_group_size_x
      - .offset:         38
        .size:           2
        .value_kind:     hidden_group_size_y
      - .offset:         40
        .size:           2
        .value_kind:     hidden_group_size_z
      - .offset:         42
        .size:           2
        .value_kind:     hidden_remainder_x
      - .offset:         44
        .size:           2
        .value_kind:     hidden_remainder_y
      - .offset:         46
        .size:           2
        .value_kind:     hidden_remainder_z
      - .offset:         64
        .size:           8
        .value_kind:     hidden_global_offset_x
      - .offset:         72
        .size:           8
        .value_kind:     hidden_global_offset_y
      - .offset:         80
        .size:           8
        .value_kind:     hidden_global_offset_z
      - .offset:         88
        .size:           2
        .value_kind:     hidden_grid_dims
    .group_segment_fixed_size: 1
    .kernarg_segment_align: 8
    .kernarg_segment_size: 280
    .language:       OpenCL C
    .language_version:
      - 2
      - 0
    .max_flat_workgroup_size: 64
    .name:           _Z6kernelI14exclusive_scanILN6hipcub18BlockScanAlgorithmE0EEhLj64ELj8ELj100EEvPKT0_PS4_S4_
    .private_segment_fixed_size: 0
    .sgpr_count:     27
    .sgpr_spill_count: 0
    .symbol:         _Z6kernelI14exclusive_scanILN6hipcub18BlockScanAlgorithmE0EEhLj64ELj8ELj100EEvPKT0_PS4_S4_.kd
    .uniform_work_group_size: 1
    .uses_dynamic_stack: false
    .vgpr_count:     13
    .vgpr_spill_count: 0
    .wavefront_size: 64
  - .agpr_count:     0
    .args:
      - .address_space:  global
        .offset:         0
        .size:           8
        .value_kind:     global_buffer
      - .address_space:  global
        .offset:         8
        .size:           8
        .value_kind:     global_buffer
      - .offset:         16
        .size:           1
        .value_kind:     by_value
      - .offset:         24
        .size:           4
        .value_kind:     hidden_block_count_x
      - .offset:         28
        .size:           4
        .value_kind:     hidden_block_count_y
      - .offset:         32
        .size:           4
        .value_kind:     hidden_block_count_z
      - .offset:         36
        .size:           2
        .value_kind:     hidden_group_size_x
      - .offset:         38
        .size:           2
        .value_kind:     hidden_group_size_y
      - .offset:         40
        .size:           2
        .value_kind:     hidden_group_size_z
      - .offset:         42
        .size:           2
        .value_kind:     hidden_remainder_x
      - .offset:         44
        .size:           2
        .value_kind:     hidden_remainder_y
      - .offset:         46
        .size:           2
        .value_kind:     hidden_remainder_z
      - .offset:         64
        .size:           8
        .value_kind:     hidden_global_offset_x
      - .offset:         72
        .size:           8
        .value_kind:     hidden_global_offset_y
      - .offset:         80
        .size:           8
        .value_kind:     hidden_global_offset_z
      - .offset:         88
        .size:           2
        .value_kind:     hidden_grid_dims
    .group_segment_fixed_size: 1
    .kernarg_segment_align: 8
    .kernarg_segment_size: 280
    .language:       OpenCL C
    .language_version:
      - 2
      - 0
    .max_flat_workgroup_size: 64
    .name:           _Z6kernelI14exclusive_scanILN6hipcub18BlockScanAlgorithmE0EEhLj64ELj11ELj100EEvPKT0_PS4_S4_
    .private_segment_fixed_size: 0
    .sgpr_count:     27
    .sgpr_spill_count: 0
    .symbol:         _Z6kernelI14exclusive_scanILN6hipcub18BlockScanAlgorithmE0EEhLj64ELj11ELj100EEvPKT0_PS4_S4_.kd
    .uniform_work_group_size: 1
    .uses_dynamic_stack: false
    .vgpr_count:     39
    .vgpr_spill_count: 0
    .wavefront_size: 64
  - .agpr_count:     0
    .args:
      - .address_space:  global
        .offset:         0
        .size:           8
        .value_kind:     global_buffer
      - .address_space:  global
        .offset:         8
        .size:           8
        .value_kind:     global_buffer
      - .offset:         16
        .size:           1
        .value_kind:     by_value
      - .offset:         24
        .size:           4
        .value_kind:     hidden_block_count_x
      - .offset:         28
        .size:           4
        .value_kind:     hidden_block_count_y
      - .offset:         32
        .size:           4
        .value_kind:     hidden_block_count_z
      - .offset:         36
        .size:           2
        .value_kind:     hidden_group_size_x
      - .offset:         38
        .size:           2
        .value_kind:     hidden_group_size_y
      - .offset:         40
        .size:           2
        .value_kind:     hidden_group_size_z
      - .offset:         42
        .size:           2
        .value_kind:     hidden_remainder_x
      - .offset:         44
        .size:           2
        .value_kind:     hidden_remainder_y
      - .offset:         46
        .size:           2
        .value_kind:     hidden_remainder_z
      - .offset:         64
        .size:           8
        .value_kind:     hidden_global_offset_x
      - .offset:         72
        .size:           8
        .value_kind:     hidden_global_offset_y
      - .offset:         80
        .size:           8
        .value_kind:     hidden_global_offset_z
      - .offset:         88
        .size:           2
        .value_kind:     hidden_grid_dims
    .group_segment_fixed_size: 1
    .kernarg_segment_align: 8
    .kernarg_segment_size: 280
    .language:       OpenCL C
    .language_version:
      - 2
      - 0
    .max_flat_workgroup_size: 64
    .name:           _Z6kernelI14exclusive_scanILN6hipcub18BlockScanAlgorithmE0EEhLj64ELj16ELj100EEvPKT0_PS4_S4_
    .private_segment_fixed_size: 0
    .sgpr_count:     27
    .sgpr_spill_count: 0
    .symbol:         _Z6kernelI14exclusive_scanILN6hipcub18BlockScanAlgorithmE0EEhLj64ELj16ELj100EEvPKT0_PS4_S4_.kd
    .uniform_work_group_size: 1
    .uses_dynamic_stack: false
    .vgpr_count:     25
    .vgpr_spill_count: 0
    .wavefront_size: 64
  - .agpr_count:     0
    .args:
      - .address_space:  global
        .offset:         0
        .size:           8
        .value_kind:     global_buffer
      - .address_space:  global
        .offset:         8
        .size:           8
        .value_kind:     global_buffer
      - .offset:         16
        .size:           4
        .value_kind:     by_value
      - .offset:         24
        .size:           4
        .value_kind:     hidden_block_count_x
      - .offset:         28
        .size:           4
        .value_kind:     hidden_block_count_y
      - .offset:         32
        .size:           4
        .value_kind:     hidden_block_count_z
      - .offset:         36
        .size:           2
        .value_kind:     hidden_group_size_x
      - .offset:         38
        .size:           2
        .value_kind:     hidden_group_size_y
      - .offset:         40
        .size:           2
        .value_kind:     hidden_group_size_z
      - .offset:         42
        .size:           2
        .value_kind:     hidden_remainder_x
      - .offset:         44
        .size:           2
        .value_kind:     hidden_remainder_y
      - .offset:         46
        .size:           2
        .value_kind:     hidden_remainder_z
      - .offset:         64
        .size:           8
        .value_kind:     hidden_global_offset_x
      - .offset:         72
        .size:           8
        .value_kind:     hidden_global_offset_y
      - .offset:         80
        .size:           8
        .value_kind:     hidden_global_offset_z
      - .offset:         88
        .size:           2
        .value_kind:     hidden_grid_dims
    .group_segment_fixed_size: 16
    .kernarg_segment_align: 8
    .kernarg_segment_size: 280
    .language:       OpenCL C
    .language_version:
      - 2
      - 0
    .max_flat_workgroup_size: 256
    .name:           _Z6kernelI14exclusive_scanILN6hipcub18BlockScanAlgorithmE0EEiLj256ELj1ELj100EEvPKT0_PS4_S4_
    .private_segment_fixed_size: 0
    .sgpr_count:     34
    .sgpr_spill_count: 0
    .symbol:         _Z6kernelI14exclusive_scanILN6hipcub18BlockScanAlgorithmE0EEiLj256ELj1ELj100EEvPKT0_PS4_S4_.kd
    .uniform_work_group_size: 1
    .uses_dynamic_stack: false
    .vgpr_count:     9
    .vgpr_spill_count: 0
    .wavefront_size: 64
  - .agpr_count:     0
    .args:
      - .address_space:  global
        .offset:         0
        .size:           8
        .value_kind:     global_buffer
      - .address_space:  global
        .offset:         8
        .size:           8
        .value_kind:     global_buffer
      - .offset:         16
        .size:           4
        .value_kind:     by_value
      - .offset:         24
        .size:           4
        .value_kind:     hidden_block_count_x
      - .offset:         28
        .size:           4
        .value_kind:     hidden_block_count_y
      - .offset:         32
        .size:           4
        .value_kind:     hidden_block_count_z
      - .offset:         36
        .size:           2
        .value_kind:     hidden_group_size_x
      - .offset:         38
        .size:           2
        .value_kind:     hidden_group_size_y
      - .offset:         40
        .size:           2
        .value_kind:     hidden_group_size_z
      - .offset:         42
        .size:           2
        .value_kind:     hidden_remainder_x
      - .offset:         44
        .size:           2
        .value_kind:     hidden_remainder_y
      - .offset:         46
        .size:           2
        .value_kind:     hidden_remainder_z
      - .offset:         64
        .size:           8
        .value_kind:     hidden_global_offset_x
      - .offset:         72
        .size:           8
        .value_kind:     hidden_global_offset_y
      - .offset:         80
        .size:           8
        .value_kind:     hidden_global_offset_z
      - .offset:         88
        .size:           2
        .value_kind:     hidden_grid_dims
    .group_segment_fixed_size: 16
    .kernarg_segment_align: 8
    .kernarg_segment_size: 280
    .language:       OpenCL C
    .language_version:
      - 2
      - 0
    .max_flat_workgroup_size: 256
    .name:           _Z6kernelI14exclusive_scanILN6hipcub18BlockScanAlgorithmE0EEiLj256ELj3ELj100EEvPKT0_PS4_S4_
    .private_segment_fixed_size: 0
    .sgpr_count:     36
    .sgpr_spill_count: 0
    .symbol:         _Z6kernelI14exclusive_scanILN6hipcub18BlockScanAlgorithmE0EEiLj256ELj3ELj100EEvPKT0_PS4_S4_.kd
    .uniform_work_group_size: 1
    .uses_dynamic_stack: false
    .vgpr_count:     18
    .vgpr_spill_count: 0
    .wavefront_size: 64
  - .agpr_count:     0
    .args:
      - .address_space:  global
        .offset:         0
        .size:           8
        .value_kind:     global_buffer
      - .address_space:  global
        .offset:         8
        .size:           8
        .value_kind:     global_buffer
      - .offset:         16
        .size:           4
        .value_kind:     by_value
      - .offset:         24
        .size:           4
        .value_kind:     hidden_block_count_x
      - .offset:         28
        .size:           4
        .value_kind:     hidden_block_count_y
      - .offset:         32
        .size:           4
        .value_kind:     hidden_block_count_z
      - .offset:         36
        .size:           2
        .value_kind:     hidden_group_size_x
      - .offset:         38
        .size:           2
        .value_kind:     hidden_group_size_y
      - .offset:         40
        .size:           2
        .value_kind:     hidden_group_size_z
      - .offset:         42
        .size:           2
        .value_kind:     hidden_remainder_x
      - .offset:         44
        .size:           2
        .value_kind:     hidden_remainder_y
      - .offset:         46
        .size:           2
        .value_kind:     hidden_remainder_z
      - .offset:         64
        .size:           8
        .value_kind:     hidden_global_offset_x
      - .offset:         72
        .size:           8
        .value_kind:     hidden_global_offset_y
      - .offset:         80
        .size:           8
        .value_kind:     hidden_global_offset_z
      - .offset:         88
        .size:           2
        .value_kind:     hidden_grid_dims
    .group_segment_fixed_size: 16
    .kernarg_segment_align: 8
    .kernarg_segment_size: 280
    .language:       OpenCL C
    .language_version:
      - 2
      - 0
    .max_flat_workgroup_size: 256
    .name:           _Z6kernelI14exclusive_scanILN6hipcub18BlockScanAlgorithmE0EEiLj256ELj4ELj100EEvPKT0_PS4_S4_
    .private_segment_fixed_size: 0
    .sgpr_count:     36
    .sgpr_spill_count: 0
    .symbol:         _Z6kernelI14exclusive_scanILN6hipcub18BlockScanAlgorithmE0EEiLj256ELj4ELj100EEvPKT0_PS4_S4_.kd
    .uniform_work_group_size: 1
    .uses_dynamic_stack: false
    .vgpr_count:     14
    .vgpr_spill_count: 0
    .wavefront_size: 64
  - .agpr_count:     0
    .args:
      - .address_space:  global
        .offset:         0
        .size:           8
        .value_kind:     global_buffer
      - .address_space:  global
        .offset:         8
        .size:           8
        .value_kind:     global_buffer
      - .offset:         16
        .size:           4
        .value_kind:     by_value
      - .offset:         24
        .size:           4
        .value_kind:     hidden_block_count_x
      - .offset:         28
        .size:           4
        .value_kind:     hidden_block_count_y
      - .offset:         32
        .size:           4
        .value_kind:     hidden_block_count_z
      - .offset:         36
        .size:           2
        .value_kind:     hidden_group_size_x
      - .offset:         38
        .size:           2
        .value_kind:     hidden_group_size_y
      - .offset:         40
        .size:           2
        .value_kind:     hidden_group_size_z
      - .offset:         42
        .size:           2
        .value_kind:     hidden_remainder_x
      - .offset:         44
        .size:           2
        .value_kind:     hidden_remainder_y
      - .offset:         46
        .size:           2
        .value_kind:     hidden_remainder_z
      - .offset:         64
        .size:           8
        .value_kind:     hidden_global_offset_x
      - .offset:         72
        .size:           8
        .value_kind:     hidden_global_offset_y
      - .offset:         80
        .size:           8
        .value_kind:     hidden_global_offset_z
      - .offset:         88
        .size:           2
        .value_kind:     hidden_grid_dims
    .group_segment_fixed_size: 16
    .kernarg_segment_align: 8
    .kernarg_segment_size: 280
    .language:       OpenCL C
    .language_version:
      - 2
      - 0
    .max_flat_workgroup_size: 256
    .name:           _Z6kernelI14exclusive_scanILN6hipcub18BlockScanAlgorithmE0EEiLj256ELj8ELj100EEvPKT0_PS4_S4_
    .private_segment_fixed_size: 0
    .sgpr_count:     36
    .sgpr_spill_count: 0
    .symbol:         _Z6kernelI14exclusive_scanILN6hipcub18BlockScanAlgorithmE0EEiLj256ELj8ELj100EEvPKT0_PS4_S4_.kd
    .uniform_work_group_size: 1
    .uses_dynamic_stack: false
    .vgpr_count:     22
    .vgpr_spill_count: 0
    .wavefront_size: 64
  - .agpr_count:     0
    .args:
      - .address_space:  global
        .offset:         0
        .size:           8
        .value_kind:     global_buffer
      - .address_space:  global
        .offset:         8
        .size:           8
        .value_kind:     global_buffer
      - .offset:         16
        .size:           4
        .value_kind:     by_value
      - .offset:         24
        .size:           4
        .value_kind:     hidden_block_count_x
      - .offset:         28
        .size:           4
        .value_kind:     hidden_block_count_y
      - .offset:         32
        .size:           4
        .value_kind:     hidden_block_count_z
      - .offset:         36
        .size:           2
        .value_kind:     hidden_group_size_x
      - .offset:         38
        .size:           2
        .value_kind:     hidden_group_size_y
      - .offset:         40
        .size:           2
        .value_kind:     hidden_group_size_z
      - .offset:         42
        .size:           2
        .value_kind:     hidden_remainder_x
      - .offset:         44
        .size:           2
        .value_kind:     hidden_remainder_y
      - .offset:         46
        .size:           2
        .value_kind:     hidden_remainder_z
      - .offset:         64
        .size:           8
        .value_kind:     hidden_global_offset_x
      - .offset:         72
        .size:           8
        .value_kind:     hidden_global_offset_y
      - .offset:         80
        .size:           8
        .value_kind:     hidden_global_offset_z
      - .offset:         88
        .size:           2
        .value_kind:     hidden_grid_dims
    .group_segment_fixed_size: 16
    .kernarg_segment_align: 8
    .kernarg_segment_size: 280
    .language:       OpenCL C
    .language_version:
      - 2
      - 0
    .max_flat_workgroup_size: 256
    .name:           _Z6kernelI14exclusive_scanILN6hipcub18BlockScanAlgorithmE0EEiLj256ELj11ELj100EEvPKT0_PS4_S4_
    .private_segment_fixed_size: 0
    .sgpr_count:     36
    .sgpr_spill_count: 0
    .symbol:         _Z6kernelI14exclusive_scanILN6hipcub18BlockScanAlgorithmE0EEiLj256ELj11ELj100EEvPKT0_PS4_S4_.kd
    .uniform_work_group_size: 1
    .uses_dynamic_stack: false
    .vgpr_count:     42
    .vgpr_spill_count: 0
    .wavefront_size: 64
  - .agpr_count:     0
    .args:
      - .address_space:  global
        .offset:         0
        .size:           8
        .value_kind:     global_buffer
      - .address_space:  global
        .offset:         8
        .size:           8
        .value_kind:     global_buffer
      - .offset:         16
        .size:           4
        .value_kind:     by_value
      - .offset:         24
        .size:           4
        .value_kind:     hidden_block_count_x
      - .offset:         28
        .size:           4
        .value_kind:     hidden_block_count_y
      - .offset:         32
        .size:           4
        .value_kind:     hidden_block_count_z
      - .offset:         36
        .size:           2
        .value_kind:     hidden_group_size_x
      - .offset:         38
        .size:           2
        .value_kind:     hidden_group_size_y
      - .offset:         40
        .size:           2
        .value_kind:     hidden_group_size_z
      - .offset:         42
        .size:           2
        .value_kind:     hidden_remainder_x
      - .offset:         44
        .size:           2
        .value_kind:     hidden_remainder_y
      - .offset:         46
        .size:           2
        .value_kind:     hidden_remainder_z
      - .offset:         64
        .size:           8
        .value_kind:     hidden_global_offset_x
      - .offset:         72
        .size:           8
        .value_kind:     hidden_global_offset_y
      - .offset:         80
        .size:           8
        .value_kind:     hidden_global_offset_z
      - .offset:         88
        .size:           2
        .value_kind:     hidden_grid_dims
    .group_segment_fixed_size: 16
    .kernarg_segment_align: 8
    .kernarg_segment_size: 280
    .language:       OpenCL C
    .language_version:
      - 2
      - 0
    .max_flat_workgroup_size: 256
    .name:           _Z6kernelI14exclusive_scanILN6hipcub18BlockScanAlgorithmE0EEiLj256ELj16ELj100EEvPKT0_PS4_S4_
    .private_segment_fixed_size: 0
    .sgpr_count:     36
    .sgpr_spill_count: 0
    .symbol:         _Z6kernelI14exclusive_scanILN6hipcub18BlockScanAlgorithmE0EEiLj256ELj16ELj100EEvPKT0_PS4_S4_.kd
    .uniform_work_group_size: 1
    .uses_dynamic_stack: false
    .vgpr_count:     32
    .vgpr_spill_count: 0
    .wavefront_size: 64
  - .agpr_count:     0
    .args:
      - .address_space:  global
        .offset:         0
        .size:           8
        .value_kind:     global_buffer
      - .address_space:  global
        .offset:         8
        .size:           8
        .value_kind:     global_buffer
      - .offset:         16
        .size:           4
        .value_kind:     by_value
      - .offset:         24
        .size:           4
        .value_kind:     hidden_block_count_x
      - .offset:         28
        .size:           4
        .value_kind:     hidden_block_count_y
      - .offset:         32
        .size:           4
        .value_kind:     hidden_block_count_z
      - .offset:         36
        .size:           2
        .value_kind:     hidden_group_size_x
      - .offset:         38
        .size:           2
        .value_kind:     hidden_group_size_y
      - .offset:         40
        .size:           2
        .value_kind:     hidden_group_size_z
      - .offset:         42
        .size:           2
        .value_kind:     hidden_remainder_x
      - .offset:         44
        .size:           2
        .value_kind:     hidden_remainder_y
      - .offset:         46
        .size:           2
        .value_kind:     hidden_remainder_z
      - .offset:         64
        .size:           8
        .value_kind:     hidden_global_offset_x
      - .offset:         72
        .size:           8
        .value_kind:     hidden_global_offset_y
      - .offset:         80
        .size:           8
        .value_kind:     hidden_global_offset_z
      - .offset:         88
        .size:           2
        .value_kind:     hidden_grid_dims
    .group_segment_fixed_size: 16
    .kernarg_segment_align: 8
    .kernarg_segment_size: 280
    .language:       OpenCL C
    .language_version:
      - 2
      - 0
    .max_flat_workgroup_size: 256
    .name:           _Z6kernelI14exclusive_scanILN6hipcub18BlockScanAlgorithmE0EEfLj256ELj1ELj100EEvPKT0_PS4_S4_
    .private_segment_fixed_size: 0
    .sgpr_count:     34
    .sgpr_spill_count: 0
    .symbol:         _Z6kernelI14exclusive_scanILN6hipcub18BlockScanAlgorithmE0EEfLj256ELj1ELj100EEvPKT0_PS4_S4_.kd
    .uniform_work_group_size: 1
    .uses_dynamic_stack: false
    .vgpr_count:     9
    .vgpr_spill_count: 0
    .wavefront_size: 64
  - .agpr_count:     0
    .args:
      - .address_space:  global
        .offset:         0
        .size:           8
        .value_kind:     global_buffer
      - .address_space:  global
        .offset:         8
        .size:           8
        .value_kind:     global_buffer
      - .offset:         16
        .size:           4
        .value_kind:     by_value
      - .offset:         24
        .size:           4
        .value_kind:     hidden_block_count_x
      - .offset:         28
        .size:           4
        .value_kind:     hidden_block_count_y
      - .offset:         32
        .size:           4
        .value_kind:     hidden_block_count_z
      - .offset:         36
        .size:           2
        .value_kind:     hidden_group_size_x
      - .offset:         38
        .size:           2
        .value_kind:     hidden_group_size_y
      - .offset:         40
        .size:           2
        .value_kind:     hidden_group_size_z
      - .offset:         42
        .size:           2
        .value_kind:     hidden_remainder_x
      - .offset:         44
        .size:           2
        .value_kind:     hidden_remainder_y
      - .offset:         46
        .size:           2
        .value_kind:     hidden_remainder_z
      - .offset:         64
        .size:           8
        .value_kind:     hidden_global_offset_x
      - .offset:         72
        .size:           8
        .value_kind:     hidden_global_offset_y
      - .offset:         80
        .size:           8
        .value_kind:     hidden_global_offset_z
      - .offset:         88
        .size:           2
        .value_kind:     hidden_grid_dims
    .group_segment_fixed_size: 16
    .kernarg_segment_align: 8
    .kernarg_segment_size: 280
    .language:       OpenCL C
    .language_version:
      - 2
      - 0
    .max_flat_workgroup_size: 256
    .name:           _Z6kernelI14exclusive_scanILN6hipcub18BlockScanAlgorithmE0EEfLj256ELj3ELj100EEvPKT0_PS4_S4_
    .private_segment_fixed_size: 0
    .sgpr_count:     36
    .sgpr_spill_count: 0
    .symbol:         _Z6kernelI14exclusive_scanILN6hipcub18BlockScanAlgorithmE0EEfLj256ELj3ELj100EEvPKT0_PS4_S4_.kd
    .uniform_work_group_size: 1
    .uses_dynamic_stack: false
    .vgpr_count:     18
    .vgpr_spill_count: 0
    .wavefront_size: 64
  - .agpr_count:     0
    .args:
      - .address_space:  global
        .offset:         0
        .size:           8
        .value_kind:     global_buffer
      - .address_space:  global
        .offset:         8
        .size:           8
        .value_kind:     global_buffer
      - .offset:         16
        .size:           4
        .value_kind:     by_value
      - .offset:         24
        .size:           4
        .value_kind:     hidden_block_count_x
      - .offset:         28
        .size:           4
        .value_kind:     hidden_block_count_y
      - .offset:         32
        .size:           4
        .value_kind:     hidden_block_count_z
      - .offset:         36
        .size:           2
        .value_kind:     hidden_group_size_x
      - .offset:         38
        .size:           2
        .value_kind:     hidden_group_size_y
      - .offset:         40
        .size:           2
        .value_kind:     hidden_group_size_z
      - .offset:         42
        .size:           2
        .value_kind:     hidden_remainder_x
      - .offset:         44
        .size:           2
        .value_kind:     hidden_remainder_y
      - .offset:         46
        .size:           2
        .value_kind:     hidden_remainder_z
      - .offset:         64
        .size:           8
        .value_kind:     hidden_global_offset_x
      - .offset:         72
        .size:           8
        .value_kind:     hidden_global_offset_y
      - .offset:         80
        .size:           8
        .value_kind:     hidden_global_offset_z
      - .offset:         88
        .size:           2
        .value_kind:     hidden_grid_dims
    .group_segment_fixed_size: 16
    .kernarg_segment_align: 8
    .kernarg_segment_size: 280
    .language:       OpenCL C
    .language_version:
      - 2
      - 0
    .max_flat_workgroup_size: 256
    .name:           _Z6kernelI14exclusive_scanILN6hipcub18BlockScanAlgorithmE0EEfLj256ELj4ELj100EEvPKT0_PS4_S4_
    .private_segment_fixed_size: 0
    .sgpr_count:     36
    .sgpr_spill_count: 0
    .symbol:         _Z6kernelI14exclusive_scanILN6hipcub18BlockScanAlgorithmE0EEfLj256ELj4ELj100EEvPKT0_PS4_S4_.kd
    .uniform_work_group_size: 1
    .uses_dynamic_stack: false
    .vgpr_count:     14
    .vgpr_spill_count: 0
    .wavefront_size: 64
  - .agpr_count:     0
    .args:
      - .address_space:  global
        .offset:         0
        .size:           8
        .value_kind:     global_buffer
      - .address_space:  global
        .offset:         8
        .size:           8
        .value_kind:     global_buffer
      - .offset:         16
        .size:           4
        .value_kind:     by_value
      - .offset:         24
        .size:           4
        .value_kind:     hidden_block_count_x
      - .offset:         28
        .size:           4
        .value_kind:     hidden_block_count_y
      - .offset:         32
        .size:           4
        .value_kind:     hidden_block_count_z
      - .offset:         36
        .size:           2
        .value_kind:     hidden_group_size_x
      - .offset:         38
        .size:           2
        .value_kind:     hidden_group_size_y
      - .offset:         40
        .size:           2
        .value_kind:     hidden_group_size_z
      - .offset:         42
        .size:           2
        .value_kind:     hidden_remainder_x
      - .offset:         44
        .size:           2
        .value_kind:     hidden_remainder_y
      - .offset:         46
        .size:           2
        .value_kind:     hidden_remainder_z
      - .offset:         64
        .size:           8
        .value_kind:     hidden_global_offset_x
      - .offset:         72
        .size:           8
        .value_kind:     hidden_global_offset_y
      - .offset:         80
        .size:           8
        .value_kind:     hidden_global_offset_z
      - .offset:         88
        .size:           2
        .value_kind:     hidden_grid_dims
    .group_segment_fixed_size: 16
    .kernarg_segment_align: 8
    .kernarg_segment_size: 280
    .language:       OpenCL C
    .language_version:
      - 2
      - 0
    .max_flat_workgroup_size: 256
    .name:           _Z6kernelI14exclusive_scanILN6hipcub18BlockScanAlgorithmE0EEfLj256ELj8ELj100EEvPKT0_PS4_S4_
    .private_segment_fixed_size: 0
    .sgpr_count:     36
    .sgpr_spill_count: 0
    .symbol:         _Z6kernelI14exclusive_scanILN6hipcub18BlockScanAlgorithmE0EEfLj256ELj8ELj100EEvPKT0_PS4_S4_.kd
    .uniform_work_group_size: 1
    .uses_dynamic_stack: false
    .vgpr_count:     22
    .vgpr_spill_count: 0
    .wavefront_size: 64
  - .agpr_count:     0
    .args:
      - .address_space:  global
        .offset:         0
        .size:           8
        .value_kind:     global_buffer
      - .address_space:  global
        .offset:         8
        .size:           8
        .value_kind:     global_buffer
      - .offset:         16
        .size:           4
        .value_kind:     by_value
      - .offset:         24
        .size:           4
        .value_kind:     hidden_block_count_x
      - .offset:         28
        .size:           4
        .value_kind:     hidden_block_count_y
      - .offset:         32
        .size:           4
        .value_kind:     hidden_block_count_z
      - .offset:         36
        .size:           2
        .value_kind:     hidden_group_size_x
      - .offset:         38
        .size:           2
        .value_kind:     hidden_group_size_y
      - .offset:         40
        .size:           2
        .value_kind:     hidden_group_size_z
      - .offset:         42
        .size:           2
        .value_kind:     hidden_remainder_x
      - .offset:         44
        .size:           2
        .value_kind:     hidden_remainder_y
      - .offset:         46
        .size:           2
        .value_kind:     hidden_remainder_z
      - .offset:         64
        .size:           8
        .value_kind:     hidden_global_offset_x
      - .offset:         72
        .size:           8
        .value_kind:     hidden_global_offset_y
      - .offset:         80
        .size:           8
        .value_kind:     hidden_global_offset_z
      - .offset:         88
        .size:           2
        .value_kind:     hidden_grid_dims
    .group_segment_fixed_size: 16
    .kernarg_segment_align: 8
    .kernarg_segment_size: 280
    .language:       OpenCL C
    .language_version:
      - 2
      - 0
    .max_flat_workgroup_size: 256
    .name:           _Z6kernelI14exclusive_scanILN6hipcub18BlockScanAlgorithmE0EEfLj256ELj11ELj100EEvPKT0_PS4_S4_
    .private_segment_fixed_size: 0
    .sgpr_count:     36
    .sgpr_spill_count: 0
    .symbol:         _Z6kernelI14exclusive_scanILN6hipcub18BlockScanAlgorithmE0EEfLj256ELj11ELj100EEvPKT0_PS4_S4_.kd
    .uniform_work_group_size: 1
    .uses_dynamic_stack: false
    .vgpr_count:     42
    .vgpr_spill_count: 0
    .wavefront_size: 64
  - .agpr_count:     0
    .args:
      - .address_space:  global
        .offset:         0
        .size:           8
        .value_kind:     global_buffer
      - .address_space:  global
        .offset:         8
        .size:           8
        .value_kind:     global_buffer
      - .offset:         16
        .size:           4
        .value_kind:     by_value
      - .offset:         24
        .size:           4
        .value_kind:     hidden_block_count_x
      - .offset:         28
        .size:           4
        .value_kind:     hidden_block_count_y
      - .offset:         32
        .size:           4
        .value_kind:     hidden_block_count_z
      - .offset:         36
        .size:           2
        .value_kind:     hidden_group_size_x
      - .offset:         38
        .size:           2
        .value_kind:     hidden_group_size_y
      - .offset:         40
        .size:           2
        .value_kind:     hidden_group_size_z
      - .offset:         42
        .size:           2
        .value_kind:     hidden_remainder_x
      - .offset:         44
        .size:           2
        .value_kind:     hidden_remainder_y
      - .offset:         46
        .size:           2
        .value_kind:     hidden_remainder_z
      - .offset:         64
        .size:           8
        .value_kind:     hidden_global_offset_x
      - .offset:         72
        .size:           8
        .value_kind:     hidden_global_offset_y
      - .offset:         80
        .size:           8
        .value_kind:     hidden_global_offset_z
      - .offset:         88
        .size:           2
        .value_kind:     hidden_grid_dims
    .group_segment_fixed_size: 16
    .kernarg_segment_align: 8
    .kernarg_segment_size: 280
    .language:       OpenCL C
    .language_version:
      - 2
      - 0
    .max_flat_workgroup_size: 256
    .name:           _Z6kernelI14exclusive_scanILN6hipcub18BlockScanAlgorithmE0EEfLj256ELj16ELj100EEvPKT0_PS4_S4_
    .private_segment_fixed_size: 0
    .sgpr_count:     36
    .sgpr_spill_count: 0
    .symbol:         _Z6kernelI14exclusive_scanILN6hipcub18BlockScanAlgorithmE0EEfLj256ELj16ELj100EEvPKT0_PS4_S4_.kd
    .uniform_work_group_size: 1
    .uses_dynamic_stack: false
    .vgpr_count:     32
    .vgpr_spill_count: 0
    .wavefront_size: 64
  - .agpr_count:     0
    .args:
      - .address_space:  global
        .offset:         0
        .size:           8
        .value_kind:     global_buffer
      - .address_space:  global
        .offset:         8
        .size:           8
        .value_kind:     global_buffer
      - .offset:         16
        .size:           8
        .value_kind:     by_value
      - .offset:         24
        .size:           4
        .value_kind:     hidden_block_count_x
      - .offset:         28
        .size:           4
        .value_kind:     hidden_block_count_y
      - .offset:         32
        .size:           4
        .value_kind:     hidden_block_count_z
      - .offset:         36
        .size:           2
        .value_kind:     hidden_group_size_x
      - .offset:         38
        .size:           2
        .value_kind:     hidden_group_size_y
      - .offset:         40
        .size:           2
        .value_kind:     hidden_group_size_z
      - .offset:         42
        .size:           2
        .value_kind:     hidden_remainder_x
      - .offset:         44
        .size:           2
        .value_kind:     hidden_remainder_y
      - .offset:         46
        .size:           2
        .value_kind:     hidden_remainder_z
      - .offset:         64
        .size:           8
        .value_kind:     hidden_global_offset_x
      - .offset:         72
        .size:           8
        .value_kind:     hidden_global_offset_y
      - .offset:         80
        .size:           8
        .value_kind:     hidden_global_offset_z
      - .offset:         88
        .size:           2
        .value_kind:     hidden_grid_dims
    .group_segment_fixed_size: 32
    .kernarg_segment_align: 8
    .kernarg_segment_size: 280
    .language:       OpenCL C
    .language_version:
      - 2
      - 0
    .max_flat_workgroup_size: 256
    .name:           _Z6kernelI14exclusive_scanILN6hipcub18BlockScanAlgorithmE0EEdLj256ELj1ELj100EEvPKT0_PS4_S4_
    .private_segment_fixed_size: 0
    .sgpr_count:     35
    .sgpr_spill_count: 0
    .symbol:         _Z6kernelI14exclusive_scanILN6hipcub18BlockScanAlgorithmE0EEdLj256ELj1ELj100EEvPKT0_PS4_S4_.kd
    .uniform_work_group_size: 1
    .uses_dynamic_stack: false
    .vgpr_count:     12
    .vgpr_spill_count: 0
    .wavefront_size: 64
  - .agpr_count:     0
    .args:
      - .address_space:  global
        .offset:         0
        .size:           8
        .value_kind:     global_buffer
      - .address_space:  global
        .offset:         8
        .size:           8
        .value_kind:     global_buffer
      - .offset:         16
        .size:           8
        .value_kind:     by_value
      - .offset:         24
        .size:           4
        .value_kind:     hidden_block_count_x
      - .offset:         28
        .size:           4
        .value_kind:     hidden_block_count_y
      - .offset:         32
        .size:           4
        .value_kind:     hidden_block_count_z
      - .offset:         36
        .size:           2
        .value_kind:     hidden_group_size_x
      - .offset:         38
        .size:           2
        .value_kind:     hidden_group_size_y
      - .offset:         40
        .size:           2
        .value_kind:     hidden_group_size_z
      - .offset:         42
        .size:           2
        .value_kind:     hidden_remainder_x
      - .offset:         44
        .size:           2
        .value_kind:     hidden_remainder_y
      - .offset:         46
        .size:           2
        .value_kind:     hidden_remainder_z
      - .offset:         64
        .size:           8
        .value_kind:     hidden_global_offset_x
      - .offset:         72
        .size:           8
        .value_kind:     hidden_global_offset_y
      - .offset:         80
        .size:           8
        .value_kind:     hidden_global_offset_z
      - .offset:         88
        .size:           2
        .value_kind:     hidden_grid_dims
    .group_segment_fixed_size: 32
    .kernarg_segment_align: 8
    .kernarg_segment_size: 280
    .language:       OpenCL C
    .language_version:
      - 2
      - 0
    .max_flat_workgroup_size: 256
    .name:           _Z6kernelI14exclusive_scanILN6hipcub18BlockScanAlgorithmE0EEdLj256ELj3ELj100EEvPKT0_PS4_S4_
    .private_segment_fixed_size: 0
    .sgpr_count:     37
    .sgpr_spill_count: 0
    .symbol:         _Z6kernelI14exclusive_scanILN6hipcub18BlockScanAlgorithmE0EEdLj256ELj3ELj100EEvPKT0_PS4_S4_.kd
    .uniform_work_group_size: 1
    .uses_dynamic_stack: false
    .vgpr_count:     20
    .vgpr_spill_count: 0
    .wavefront_size: 64
  - .agpr_count:     0
    .args:
      - .address_space:  global
        .offset:         0
        .size:           8
        .value_kind:     global_buffer
      - .address_space:  global
        .offset:         8
        .size:           8
        .value_kind:     global_buffer
      - .offset:         16
        .size:           8
        .value_kind:     by_value
      - .offset:         24
        .size:           4
        .value_kind:     hidden_block_count_x
      - .offset:         28
        .size:           4
        .value_kind:     hidden_block_count_y
      - .offset:         32
        .size:           4
        .value_kind:     hidden_block_count_z
      - .offset:         36
        .size:           2
        .value_kind:     hidden_group_size_x
      - .offset:         38
        .size:           2
        .value_kind:     hidden_group_size_y
      - .offset:         40
        .size:           2
        .value_kind:     hidden_group_size_z
      - .offset:         42
        .size:           2
        .value_kind:     hidden_remainder_x
      - .offset:         44
        .size:           2
        .value_kind:     hidden_remainder_y
      - .offset:         46
        .size:           2
        .value_kind:     hidden_remainder_z
      - .offset:         64
        .size:           8
        .value_kind:     hidden_global_offset_x
      - .offset:         72
        .size:           8
        .value_kind:     hidden_global_offset_y
      - .offset:         80
        .size:           8
        .value_kind:     hidden_global_offset_z
      - .offset:         88
        .size:           2
        .value_kind:     hidden_grid_dims
    .group_segment_fixed_size: 32
    .kernarg_segment_align: 8
    .kernarg_segment_size: 280
    .language:       OpenCL C
    .language_version:
      - 2
      - 0
    .max_flat_workgroup_size: 256
    .name:           _Z6kernelI14exclusive_scanILN6hipcub18BlockScanAlgorithmE0EEdLj256ELj4ELj100EEvPKT0_PS4_S4_
    .private_segment_fixed_size: 0
    .sgpr_count:     37
    .sgpr_spill_count: 0
    .symbol:         _Z6kernelI14exclusive_scanILN6hipcub18BlockScanAlgorithmE0EEdLj256ELj4ELj100EEvPKT0_PS4_S4_.kd
    .uniform_work_group_size: 1
    .uses_dynamic_stack: false
    .vgpr_count:     20
    .vgpr_spill_count: 0
    .wavefront_size: 64
  - .agpr_count:     0
    .args:
      - .address_space:  global
        .offset:         0
        .size:           8
        .value_kind:     global_buffer
      - .address_space:  global
        .offset:         8
        .size:           8
        .value_kind:     global_buffer
      - .offset:         16
        .size:           8
        .value_kind:     by_value
      - .offset:         24
        .size:           4
        .value_kind:     hidden_block_count_x
      - .offset:         28
        .size:           4
        .value_kind:     hidden_block_count_y
      - .offset:         32
        .size:           4
        .value_kind:     hidden_block_count_z
      - .offset:         36
        .size:           2
        .value_kind:     hidden_group_size_x
      - .offset:         38
        .size:           2
        .value_kind:     hidden_group_size_y
      - .offset:         40
        .size:           2
        .value_kind:     hidden_group_size_z
      - .offset:         42
        .size:           2
        .value_kind:     hidden_remainder_x
      - .offset:         44
        .size:           2
        .value_kind:     hidden_remainder_y
      - .offset:         46
        .size:           2
        .value_kind:     hidden_remainder_z
      - .offset:         64
        .size:           8
        .value_kind:     hidden_global_offset_x
      - .offset:         72
        .size:           8
        .value_kind:     hidden_global_offset_y
      - .offset:         80
        .size:           8
        .value_kind:     hidden_global_offset_z
      - .offset:         88
        .size:           2
        .value_kind:     hidden_grid_dims
    .group_segment_fixed_size: 32
    .kernarg_segment_align: 8
    .kernarg_segment_size: 280
    .language:       OpenCL C
    .language_version:
      - 2
      - 0
    .max_flat_workgroup_size: 256
    .name:           _Z6kernelI14exclusive_scanILN6hipcub18BlockScanAlgorithmE0EEdLj256ELj8ELj100EEvPKT0_PS4_S4_
    .private_segment_fixed_size: 0
    .sgpr_count:     37
    .sgpr_spill_count: 0
    .symbol:         _Z6kernelI14exclusive_scanILN6hipcub18BlockScanAlgorithmE0EEdLj256ELj8ELj100EEvPKT0_PS4_S4_.kd
    .uniform_work_group_size: 1
    .uses_dynamic_stack: false
    .vgpr_count:     28
    .vgpr_spill_count: 0
    .wavefront_size: 64
  - .agpr_count:     0
    .args:
      - .address_space:  global
        .offset:         0
        .size:           8
        .value_kind:     global_buffer
      - .address_space:  global
        .offset:         8
        .size:           8
        .value_kind:     global_buffer
      - .offset:         16
        .size:           8
        .value_kind:     by_value
      - .offset:         24
        .size:           4
        .value_kind:     hidden_block_count_x
      - .offset:         28
        .size:           4
        .value_kind:     hidden_block_count_y
      - .offset:         32
        .size:           4
        .value_kind:     hidden_block_count_z
      - .offset:         36
        .size:           2
        .value_kind:     hidden_group_size_x
      - .offset:         38
        .size:           2
        .value_kind:     hidden_group_size_y
      - .offset:         40
        .size:           2
        .value_kind:     hidden_group_size_z
      - .offset:         42
        .size:           2
        .value_kind:     hidden_remainder_x
      - .offset:         44
        .size:           2
        .value_kind:     hidden_remainder_y
      - .offset:         46
        .size:           2
        .value_kind:     hidden_remainder_z
      - .offset:         64
        .size:           8
        .value_kind:     hidden_global_offset_x
      - .offset:         72
        .size:           8
        .value_kind:     hidden_global_offset_y
      - .offset:         80
        .size:           8
        .value_kind:     hidden_global_offset_z
      - .offset:         88
        .size:           2
        .value_kind:     hidden_grid_dims
    .group_segment_fixed_size: 32
    .kernarg_segment_align: 8
    .kernarg_segment_size: 280
    .language:       OpenCL C
    .language_version:
      - 2
      - 0
    .max_flat_workgroup_size: 256
    .name:           _Z6kernelI14exclusive_scanILN6hipcub18BlockScanAlgorithmE0EEdLj256ELj11ELj100EEvPKT0_PS4_S4_
    .private_segment_fixed_size: 0
    .sgpr_count:     37
    .sgpr_spill_count: 0
    .symbol:         _Z6kernelI14exclusive_scanILN6hipcub18BlockScanAlgorithmE0EEdLj256ELj11ELj100EEvPKT0_PS4_S4_.kd
    .uniform_work_group_size: 1
    .uses_dynamic_stack: false
    .vgpr_count:     52
    .vgpr_spill_count: 0
    .wavefront_size: 64
  - .agpr_count:     0
    .args:
      - .address_space:  global
        .offset:         0
        .size:           8
        .value_kind:     global_buffer
      - .address_space:  global
        .offset:         8
        .size:           8
        .value_kind:     global_buffer
      - .offset:         16
        .size:           8
        .value_kind:     by_value
      - .offset:         24
        .size:           4
        .value_kind:     hidden_block_count_x
      - .offset:         28
        .size:           4
        .value_kind:     hidden_block_count_y
      - .offset:         32
        .size:           4
        .value_kind:     hidden_block_count_z
      - .offset:         36
        .size:           2
        .value_kind:     hidden_group_size_x
      - .offset:         38
        .size:           2
        .value_kind:     hidden_group_size_y
      - .offset:         40
        .size:           2
        .value_kind:     hidden_group_size_z
      - .offset:         42
        .size:           2
        .value_kind:     hidden_remainder_x
      - .offset:         44
        .size:           2
        .value_kind:     hidden_remainder_y
      - .offset:         46
        .size:           2
        .value_kind:     hidden_remainder_z
      - .offset:         64
        .size:           8
        .value_kind:     hidden_global_offset_x
      - .offset:         72
        .size:           8
        .value_kind:     hidden_global_offset_y
      - .offset:         80
        .size:           8
        .value_kind:     hidden_global_offset_z
      - .offset:         88
        .size:           2
        .value_kind:     hidden_grid_dims
    .group_segment_fixed_size: 32
    .kernarg_segment_align: 8
    .kernarg_segment_size: 280
    .language:       OpenCL C
    .language_version:
      - 2
      - 0
    .max_flat_workgroup_size: 256
    .name:           _Z6kernelI14exclusive_scanILN6hipcub18BlockScanAlgorithmE0EEdLj256ELj16ELj100EEvPKT0_PS4_S4_
    .private_segment_fixed_size: 0
    .sgpr_count:     37
    .sgpr_spill_count: 0
    .symbol:         _Z6kernelI14exclusive_scanILN6hipcub18BlockScanAlgorithmE0EEdLj256ELj16ELj100EEvPKT0_PS4_S4_.kd
    .uniform_work_group_size: 1
    .uses_dynamic_stack: false
    .vgpr_count:     52
    .vgpr_spill_count: 0
    .wavefront_size: 64
  - .agpr_count:     0
    .args:
      - .address_space:  global
        .offset:         0
        .size:           8
        .value_kind:     global_buffer
      - .address_space:  global
        .offset:         8
        .size:           8
        .value_kind:     global_buffer
      - .offset:         16
        .size:           1
        .value_kind:     by_value
      - .offset:         24
        .size:           4
        .value_kind:     hidden_block_count_x
      - .offset:         28
        .size:           4
        .value_kind:     hidden_block_count_y
      - .offset:         32
        .size:           4
        .value_kind:     hidden_block_count_z
      - .offset:         36
        .size:           2
        .value_kind:     hidden_group_size_x
      - .offset:         38
        .size:           2
        .value_kind:     hidden_group_size_y
      - .offset:         40
        .size:           2
        .value_kind:     hidden_group_size_z
      - .offset:         42
        .size:           2
        .value_kind:     hidden_remainder_x
      - .offset:         44
        .size:           2
        .value_kind:     hidden_remainder_y
      - .offset:         46
        .size:           2
        .value_kind:     hidden_remainder_z
      - .offset:         64
        .size:           8
        .value_kind:     hidden_global_offset_x
      - .offset:         72
        .size:           8
        .value_kind:     hidden_global_offset_y
      - .offset:         80
        .size:           8
        .value_kind:     hidden_global_offset_z
      - .offset:         88
        .size:           2
        .value_kind:     hidden_grid_dims
    .group_segment_fixed_size: 4
    .kernarg_segment_align: 8
    .kernarg_segment_size: 280
    .language:       OpenCL C
    .language_version:
      - 2
      - 0
    .max_flat_workgroup_size: 256
    .name:           _Z6kernelI14exclusive_scanILN6hipcub18BlockScanAlgorithmE0EEhLj256ELj1ELj100EEvPKT0_PS4_S4_
    .private_segment_fixed_size: 0
    .sgpr_count:     34
    .sgpr_spill_count: 0
    .symbol:         _Z6kernelI14exclusive_scanILN6hipcub18BlockScanAlgorithmE0EEhLj256ELj1ELj100EEvPKT0_PS4_S4_.kd
    .uniform_work_group_size: 1
    .uses_dynamic_stack: false
    .vgpr_count:     9
    .vgpr_spill_count: 0
    .wavefront_size: 64
  - .agpr_count:     0
    .args:
      - .address_space:  global
        .offset:         0
        .size:           8
        .value_kind:     global_buffer
      - .address_space:  global
        .offset:         8
        .size:           8
        .value_kind:     global_buffer
      - .offset:         16
        .size:           1
        .value_kind:     by_value
      - .offset:         24
        .size:           4
        .value_kind:     hidden_block_count_x
      - .offset:         28
        .size:           4
        .value_kind:     hidden_block_count_y
      - .offset:         32
        .size:           4
        .value_kind:     hidden_block_count_z
      - .offset:         36
        .size:           2
        .value_kind:     hidden_group_size_x
      - .offset:         38
        .size:           2
        .value_kind:     hidden_group_size_y
      - .offset:         40
        .size:           2
        .value_kind:     hidden_group_size_z
      - .offset:         42
        .size:           2
        .value_kind:     hidden_remainder_x
      - .offset:         44
        .size:           2
        .value_kind:     hidden_remainder_y
      - .offset:         46
        .size:           2
        .value_kind:     hidden_remainder_z
      - .offset:         64
        .size:           8
        .value_kind:     hidden_global_offset_x
      - .offset:         72
        .size:           8
        .value_kind:     hidden_global_offset_y
      - .offset:         80
        .size:           8
        .value_kind:     hidden_global_offset_z
      - .offset:         88
        .size:           2
        .value_kind:     hidden_grid_dims
    .group_segment_fixed_size: 4
    .kernarg_segment_align: 8
    .kernarg_segment_size: 280
    .language:       OpenCL C
    .language_version:
      - 2
      - 0
    .max_flat_workgroup_size: 256
    .name:           _Z6kernelI14exclusive_scanILN6hipcub18BlockScanAlgorithmE0EEhLj256ELj3ELj100EEvPKT0_PS4_S4_
    .private_segment_fixed_size: 0
    .sgpr_count:     36
    .sgpr_spill_count: 0
    .symbol:         _Z6kernelI14exclusive_scanILN6hipcub18BlockScanAlgorithmE0EEhLj256ELj3ELj100EEvPKT0_PS4_S4_.kd
    .uniform_work_group_size: 1
    .uses_dynamic_stack: false
    .vgpr_count:     18
    .vgpr_spill_count: 0
    .wavefront_size: 64
  - .agpr_count:     0
    .args:
      - .address_space:  global
        .offset:         0
        .size:           8
        .value_kind:     global_buffer
      - .address_space:  global
        .offset:         8
        .size:           8
        .value_kind:     global_buffer
      - .offset:         16
        .size:           1
        .value_kind:     by_value
      - .offset:         24
        .size:           4
        .value_kind:     hidden_block_count_x
      - .offset:         28
        .size:           4
        .value_kind:     hidden_block_count_y
      - .offset:         32
        .size:           4
        .value_kind:     hidden_block_count_z
      - .offset:         36
        .size:           2
        .value_kind:     hidden_group_size_x
      - .offset:         38
        .size:           2
        .value_kind:     hidden_group_size_y
      - .offset:         40
        .size:           2
        .value_kind:     hidden_group_size_z
      - .offset:         42
        .size:           2
        .value_kind:     hidden_remainder_x
      - .offset:         44
        .size:           2
        .value_kind:     hidden_remainder_y
      - .offset:         46
        .size:           2
        .value_kind:     hidden_remainder_z
      - .offset:         64
        .size:           8
        .value_kind:     hidden_global_offset_x
      - .offset:         72
        .size:           8
        .value_kind:     hidden_global_offset_y
      - .offset:         80
        .size:           8
        .value_kind:     hidden_global_offset_z
      - .offset:         88
        .size:           2
        .value_kind:     hidden_grid_dims
    .group_segment_fixed_size: 4
    .kernarg_segment_align: 8
    .kernarg_segment_size: 280
    .language:       OpenCL C
    .language_version:
      - 2
      - 0
    .max_flat_workgroup_size: 256
    .name:           _Z6kernelI14exclusive_scanILN6hipcub18BlockScanAlgorithmE0EEhLj256ELj4ELj100EEvPKT0_PS4_S4_
    .private_segment_fixed_size: 0
    .sgpr_count:     36
    .sgpr_spill_count: 0
    .symbol:         _Z6kernelI14exclusive_scanILN6hipcub18BlockScanAlgorithmE0EEhLj256ELj4ELj100EEvPKT0_PS4_S4_.kd
    .uniform_work_group_size: 1
    .uses_dynamic_stack: false
    .vgpr_count:     12
    .vgpr_spill_count: 0
    .wavefront_size: 64
  - .agpr_count:     0
    .args:
      - .address_space:  global
        .offset:         0
        .size:           8
        .value_kind:     global_buffer
      - .address_space:  global
        .offset:         8
        .size:           8
        .value_kind:     global_buffer
      - .offset:         16
        .size:           1
        .value_kind:     by_value
      - .offset:         24
        .size:           4
        .value_kind:     hidden_block_count_x
      - .offset:         28
        .size:           4
        .value_kind:     hidden_block_count_y
      - .offset:         32
        .size:           4
        .value_kind:     hidden_block_count_z
      - .offset:         36
        .size:           2
        .value_kind:     hidden_group_size_x
      - .offset:         38
        .size:           2
        .value_kind:     hidden_group_size_y
      - .offset:         40
        .size:           2
        .value_kind:     hidden_group_size_z
      - .offset:         42
        .size:           2
        .value_kind:     hidden_remainder_x
      - .offset:         44
        .size:           2
        .value_kind:     hidden_remainder_y
      - .offset:         46
        .size:           2
        .value_kind:     hidden_remainder_z
      - .offset:         64
        .size:           8
        .value_kind:     hidden_global_offset_x
      - .offset:         72
        .size:           8
        .value_kind:     hidden_global_offset_y
      - .offset:         80
        .size:           8
        .value_kind:     hidden_global_offset_z
      - .offset:         88
        .size:           2
        .value_kind:     hidden_grid_dims
    .group_segment_fixed_size: 4
    .kernarg_segment_align: 8
    .kernarg_segment_size: 280
    .language:       OpenCL C
    .language_version:
      - 2
      - 0
    .max_flat_workgroup_size: 256
    .name:           _Z6kernelI14exclusive_scanILN6hipcub18BlockScanAlgorithmE0EEhLj256ELj8ELj100EEvPKT0_PS4_S4_
    .private_segment_fixed_size: 0
    .sgpr_count:     36
    .sgpr_spill_count: 0
    .symbol:         _Z6kernelI14exclusive_scanILN6hipcub18BlockScanAlgorithmE0EEhLj256ELj8ELj100EEvPKT0_PS4_S4_.kd
    .uniform_work_group_size: 1
    .uses_dynamic_stack: false
    .vgpr_count:     15
    .vgpr_spill_count: 0
    .wavefront_size: 64
  - .agpr_count:     0
    .args:
      - .address_space:  global
        .offset:         0
        .size:           8
        .value_kind:     global_buffer
      - .address_space:  global
        .offset:         8
        .size:           8
        .value_kind:     global_buffer
      - .offset:         16
        .size:           1
        .value_kind:     by_value
      - .offset:         24
        .size:           4
        .value_kind:     hidden_block_count_x
      - .offset:         28
        .size:           4
        .value_kind:     hidden_block_count_y
      - .offset:         32
        .size:           4
        .value_kind:     hidden_block_count_z
      - .offset:         36
        .size:           2
        .value_kind:     hidden_group_size_x
      - .offset:         38
        .size:           2
        .value_kind:     hidden_group_size_y
      - .offset:         40
        .size:           2
        .value_kind:     hidden_group_size_z
      - .offset:         42
        .size:           2
        .value_kind:     hidden_remainder_x
      - .offset:         44
        .size:           2
        .value_kind:     hidden_remainder_y
      - .offset:         46
        .size:           2
        .value_kind:     hidden_remainder_z
      - .offset:         64
        .size:           8
        .value_kind:     hidden_global_offset_x
      - .offset:         72
        .size:           8
        .value_kind:     hidden_global_offset_y
      - .offset:         80
        .size:           8
        .value_kind:     hidden_global_offset_z
      - .offset:         88
        .size:           2
        .value_kind:     hidden_grid_dims
    .group_segment_fixed_size: 4
    .kernarg_segment_align: 8
    .kernarg_segment_size: 280
    .language:       OpenCL C
    .language_version:
      - 2
      - 0
    .max_flat_workgroup_size: 256
    .name:           _Z6kernelI14exclusive_scanILN6hipcub18BlockScanAlgorithmE0EEhLj256ELj11ELj100EEvPKT0_PS4_S4_
    .private_segment_fixed_size: 0
    .sgpr_count:     36
    .sgpr_spill_count: 0
    .symbol:         _Z6kernelI14exclusive_scanILN6hipcub18BlockScanAlgorithmE0EEhLj256ELj11ELj100EEvPKT0_PS4_S4_.kd
    .uniform_work_group_size: 1
    .uses_dynamic_stack: false
    .vgpr_count:     42
    .vgpr_spill_count: 0
    .wavefront_size: 64
  - .agpr_count:     0
    .args:
      - .address_space:  global
        .offset:         0
        .size:           8
        .value_kind:     global_buffer
      - .address_space:  global
        .offset:         8
        .size:           8
        .value_kind:     global_buffer
      - .offset:         16
        .size:           1
        .value_kind:     by_value
      - .offset:         24
        .size:           4
        .value_kind:     hidden_block_count_x
      - .offset:         28
        .size:           4
        .value_kind:     hidden_block_count_y
      - .offset:         32
        .size:           4
        .value_kind:     hidden_block_count_z
      - .offset:         36
        .size:           2
        .value_kind:     hidden_group_size_x
      - .offset:         38
        .size:           2
        .value_kind:     hidden_group_size_y
      - .offset:         40
        .size:           2
        .value_kind:     hidden_group_size_z
      - .offset:         42
        .size:           2
        .value_kind:     hidden_remainder_x
      - .offset:         44
        .size:           2
        .value_kind:     hidden_remainder_y
      - .offset:         46
        .size:           2
        .value_kind:     hidden_remainder_z
      - .offset:         64
        .size:           8
        .value_kind:     hidden_global_offset_x
      - .offset:         72
        .size:           8
        .value_kind:     hidden_global_offset_y
      - .offset:         80
        .size:           8
        .value_kind:     hidden_global_offset_z
      - .offset:         88
        .size:           2
        .value_kind:     hidden_grid_dims
    .group_segment_fixed_size: 4
    .kernarg_segment_align: 8
    .kernarg_segment_size: 280
    .language:       OpenCL C
    .language_version:
      - 2
      - 0
    .max_flat_workgroup_size: 256
    .name:           _Z6kernelI14exclusive_scanILN6hipcub18BlockScanAlgorithmE0EEhLj256ELj16ELj100EEvPKT0_PS4_S4_
    .private_segment_fixed_size: 0
    .sgpr_count:     36
    .sgpr_spill_count: 0
    .symbol:         _Z6kernelI14exclusive_scanILN6hipcub18BlockScanAlgorithmE0EEhLj256ELj16ELj100EEvPKT0_PS4_S4_.kd
    .uniform_work_group_size: 1
    .uses_dynamic_stack: false
    .vgpr_count:     26
    .vgpr_spill_count: 0
    .wavefront_size: 64
  - .agpr_count:     0
    .args:
      - .address_space:  global
        .offset:         0
        .size:           8
        .value_kind:     global_buffer
      - .address_space:  global
        .offset:         8
        .size:           8
        .value_kind:     global_buffer
      - .offset:         16
        .size:           8
        .value_kind:     by_value
      - .offset:         24
        .size:           4
        .value_kind:     hidden_block_count_x
      - .offset:         28
        .size:           4
        .value_kind:     hidden_block_count_y
      - .offset:         32
        .size:           4
        .value_kind:     hidden_block_count_z
      - .offset:         36
        .size:           2
        .value_kind:     hidden_group_size_x
      - .offset:         38
        .size:           2
        .value_kind:     hidden_group_size_y
      - .offset:         40
        .size:           2
        .value_kind:     hidden_group_size_z
      - .offset:         42
        .size:           2
        .value_kind:     hidden_remainder_x
      - .offset:         44
        .size:           2
        .value_kind:     hidden_remainder_y
      - .offset:         46
        .size:           2
        .value_kind:     hidden_remainder_z
      - .offset:         64
        .size:           8
        .value_kind:     hidden_global_offset_x
      - .offset:         72
        .size:           8
        .value_kind:     hidden_global_offset_y
      - .offset:         80
        .size:           8
        .value_kind:     hidden_global_offset_z
      - .offset:         88
        .size:           2
        .value_kind:     hidden_grid_dims
    .group_segment_fixed_size: 32
    .kernarg_segment_align: 8
    .kernarg_segment_size: 280
    .language:       OpenCL C
    .language_version:
      - 2
      - 0
    .max_flat_workgroup_size: 256
    .name:           _Z6kernelI14exclusive_scanILN6hipcub18BlockScanAlgorithmE0EEN15benchmark_utils11custom_typeIffEELj256ELj1ELj100EEvPKT0_PS7_S7_
    .private_segment_fixed_size: 0
    .sgpr_count:     35
    .sgpr_spill_count: 0
    .symbol:         _Z6kernelI14exclusive_scanILN6hipcub18BlockScanAlgorithmE0EEN15benchmark_utils11custom_typeIffEELj256ELj1ELj100EEvPKT0_PS7_S7_.kd
    .uniform_work_group_size: 1
    .uses_dynamic_stack: false
    .vgpr_count:     14
    .vgpr_spill_count: 0
    .wavefront_size: 64
  - .agpr_count:     0
    .args:
      - .address_space:  global
        .offset:         0
        .size:           8
        .value_kind:     global_buffer
      - .address_space:  global
        .offset:         8
        .size:           8
        .value_kind:     global_buffer
      - .offset:         16
        .size:           8
        .value_kind:     by_value
      - .offset:         24
        .size:           4
        .value_kind:     hidden_block_count_x
      - .offset:         28
        .size:           4
        .value_kind:     hidden_block_count_y
      - .offset:         32
        .size:           4
        .value_kind:     hidden_block_count_z
      - .offset:         36
        .size:           2
        .value_kind:     hidden_group_size_x
      - .offset:         38
        .size:           2
        .value_kind:     hidden_group_size_y
      - .offset:         40
        .size:           2
        .value_kind:     hidden_group_size_z
      - .offset:         42
        .size:           2
        .value_kind:     hidden_remainder_x
      - .offset:         44
        .size:           2
        .value_kind:     hidden_remainder_y
      - .offset:         46
        .size:           2
        .value_kind:     hidden_remainder_z
      - .offset:         64
        .size:           8
        .value_kind:     hidden_global_offset_x
      - .offset:         72
        .size:           8
        .value_kind:     hidden_global_offset_y
      - .offset:         80
        .size:           8
        .value_kind:     hidden_global_offset_z
      - .offset:         88
        .size:           2
        .value_kind:     hidden_grid_dims
    .group_segment_fixed_size: 32
    .kernarg_segment_align: 8
    .kernarg_segment_size: 280
    .language:       OpenCL C
    .language_version:
      - 2
      - 0
    .max_flat_workgroup_size: 256
    .name:           _Z6kernelI14exclusive_scanILN6hipcub18BlockScanAlgorithmE0EEN15benchmark_utils11custom_typeIffEELj256ELj4ELj100EEvPKT0_PS7_S7_
    .private_segment_fixed_size: 0
    .sgpr_count:     37
    .sgpr_spill_count: 0
    .symbol:         _Z6kernelI14exclusive_scanILN6hipcub18BlockScanAlgorithmE0EEN15benchmark_utils11custom_typeIffEELj256ELj4ELj100EEvPKT0_PS7_S7_.kd
    .uniform_work_group_size: 1
    .uses_dynamic_stack: false
    .vgpr_count:     22
    .vgpr_spill_count: 0
    .wavefront_size: 64
  - .agpr_count:     0
    .args:
      - .address_space:  global
        .offset:         0
        .size:           8
        .value_kind:     global_buffer
      - .address_space:  global
        .offset:         8
        .size:           8
        .value_kind:     global_buffer
      - .offset:         16
        .size:           8
        .value_kind:     by_value
      - .offset:         24
        .size:           4
        .value_kind:     hidden_block_count_x
      - .offset:         28
        .size:           4
        .value_kind:     hidden_block_count_y
      - .offset:         32
        .size:           4
        .value_kind:     hidden_block_count_z
      - .offset:         36
        .size:           2
        .value_kind:     hidden_group_size_x
      - .offset:         38
        .size:           2
        .value_kind:     hidden_group_size_y
      - .offset:         40
        .size:           2
        .value_kind:     hidden_group_size_z
      - .offset:         42
        .size:           2
        .value_kind:     hidden_remainder_x
      - .offset:         44
        .size:           2
        .value_kind:     hidden_remainder_y
      - .offset:         46
        .size:           2
        .value_kind:     hidden_remainder_z
      - .offset:         64
        .size:           8
        .value_kind:     hidden_global_offset_x
      - .offset:         72
        .size:           8
        .value_kind:     hidden_global_offset_y
      - .offset:         80
        .size:           8
        .value_kind:     hidden_global_offset_z
      - .offset:         88
        .size:           2
        .value_kind:     hidden_grid_dims
    .group_segment_fixed_size: 32
    .kernarg_segment_align: 8
    .kernarg_segment_size: 280
    .language:       OpenCL C
    .language_version:
      - 2
      - 0
    .max_flat_workgroup_size: 256
    .name:           _Z6kernelI14exclusive_scanILN6hipcub18BlockScanAlgorithmE0EEN15benchmark_utils11custom_typeIffEELj256ELj8ELj100EEvPKT0_PS7_S7_
    .private_segment_fixed_size: 0
    .sgpr_count:     37
    .sgpr_spill_count: 0
    .symbol:         _Z6kernelI14exclusive_scanILN6hipcub18BlockScanAlgorithmE0EEN15benchmark_utils11custom_typeIffEELj256ELj8ELj100EEvPKT0_PS7_S7_.kd
    .uniform_work_group_size: 1
    .uses_dynamic_stack: false
    .vgpr_count:     36
    .vgpr_spill_count: 0
    .wavefront_size: 64
  - .agpr_count:     0
    .args:
      - .address_space:  global
        .offset:         0
        .size:           8
        .value_kind:     global_buffer
      - .address_space:  global
        .offset:         8
        .size:           8
        .value_kind:     global_buffer
      - .offset:         16
        .size:           16
        .value_kind:     by_value
      - .offset:         32
        .size:           4
        .value_kind:     hidden_block_count_x
      - .offset:         36
        .size:           4
        .value_kind:     hidden_block_count_y
      - .offset:         40
        .size:           4
        .value_kind:     hidden_block_count_z
      - .offset:         44
        .size:           2
        .value_kind:     hidden_group_size_x
      - .offset:         46
        .size:           2
        .value_kind:     hidden_group_size_y
      - .offset:         48
        .size:           2
        .value_kind:     hidden_group_size_z
      - .offset:         50
        .size:           2
        .value_kind:     hidden_remainder_x
      - .offset:         52
        .size:           2
        .value_kind:     hidden_remainder_y
      - .offset:         54
        .size:           2
        .value_kind:     hidden_remainder_z
      - .offset:         72
        .size:           8
        .value_kind:     hidden_global_offset_x
      - .offset:         80
        .size:           8
        .value_kind:     hidden_global_offset_y
      - .offset:         88
        .size:           8
        .value_kind:     hidden_global_offset_z
      - .offset:         96
        .size:           2
        .value_kind:     hidden_grid_dims
    .group_segment_fixed_size: 64
    .kernarg_segment_align: 8
    .kernarg_segment_size: 288
    .language:       OpenCL C
    .language_version:
      - 2
      - 0
    .max_flat_workgroup_size: 256
    .name:           _Z6kernelI14exclusive_scanILN6hipcub18BlockScanAlgorithmE0EEN15benchmark_utils11custom_typeIddEELj256ELj1ELj100EEvPKT0_PS7_S7_
    .private_segment_fixed_size: 0
    .sgpr_count:     40
    .sgpr_spill_count: 0
    .symbol:         _Z6kernelI14exclusive_scanILN6hipcub18BlockScanAlgorithmE0EEN15benchmark_utils11custom_typeIddEELj256ELj1ELj100EEvPKT0_PS7_S7_.kd
    .uniform_work_group_size: 1
    .uses_dynamic_stack: false
    .vgpr_count:     18
    .vgpr_spill_count: 0
    .wavefront_size: 64
  - .agpr_count:     0
    .args:
      - .address_space:  global
        .offset:         0
        .size:           8
        .value_kind:     global_buffer
      - .address_space:  global
        .offset:         8
        .size:           8
        .value_kind:     global_buffer
      - .offset:         16
        .size:           16
        .value_kind:     by_value
      - .offset:         32
        .size:           4
        .value_kind:     hidden_block_count_x
      - .offset:         36
        .size:           4
        .value_kind:     hidden_block_count_y
      - .offset:         40
        .size:           4
        .value_kind:     hidden_block_count_z
      - .offset:         44
        .size:           2
        .value_kind:     hidden_group_size_x
      - .offset:         46
        .size:           2
        .value_kind:     hidden_group_size_y
      - .offset:         48
        .size:           2
        .value_kind:     hidden_group_size_z
      - .offset:         50
        .size:           2
        .value_kind:     hidden_remainder_x
      - .offset:         52
        .size:           2
        .value_kind:     hidden_remainder_y
      - .offset:         54
        .size:           2
        .value_kind:     hidden_remainder_z
      - .offset:         72
        .size:           8
        .value_kind:     hidden_global_offset_x
      - .offset:         80
        .size:           8
        .value_kind:     hidden_global_offset_y
      - .offset:         88
        .size:           8
        .value_kind:     hidden_global_offset_z
      - .offset:         96
        .size:           2
        .value_kind:     hidden_grid_dims
    .group_segment_fixed_size: 64
    .kernarg_segment_align: 8
    .kernarg_segment_size: 288
    .language:       OpenCL C
    .language_version:
      - 2
      - 0
    .max_flat_workgroup_size: 256
    .name:           _Z6kernelI14exclusive_scanILN6hipcub18BlockScanAlgorithmE0EEN15benchmark_utils11custom_typeIddEELj256ELj4ELj100EEvPKT0_PS7_S7_
    .private_segment_fixed_size: 0
    .sgpr_count:     42
    .sgpr_spill_count: 0
    .symbol:         _Z6kernelI14exclusive_scanILN6hipcub18BlockScanAlgorithmE0EEN15benchmark_utils11custom_typeIddEELj256ELj4ELj100EEvPKT0_PS7_S7_.kd
    .uniform_work_group_size: 1
    .uses_dynamic_stack: false
    .vgpr_count:     30
    .vgpr_spill_count: 0
    .wavefront_size: 64
  - .agpr_count:     0
    .args:
      - .address_space:  global
        .offset:         0
        .size:           8
        .value_kind:     global_buffer
      - .address_space:  global
        .offset:         8
        .size:           8
        .value_kind:     global_buffer
      - .offset:         16
        .size:           16
        .value_kind:     by_value
      - .offset:         32
        .size:           4
        .value_kind:     hidden_block_count_x
      - .offset:         36
        .size:           4
        .value_kind:     hidden_block_count_y
      - .offset:         40
        .size:           4
        .value_kind:     hidden_block_count_z
      - .offset:         44
        .size:           2
        .value_kind:     hidden_group_size_x
      - .offset:         46
        .size:           2
        .value_kind:     hidden_group_size_y
      - .offset:         48
        .size:           2
        .value_kind:     hidden_group_size_z
      - .offset:         50
        .size:           2
        .value_kind:     hidden_remainder_x
      - .offset:         52
        .size:           2
        .value_kind:     hidden_remainder_y
      - .offset:         54
        .size:           2
        .value_kind:     hidden_remainder_z
      - .offset:         72
        .size:           8
        .value_kind:     hidden_global_offset_x
      - .offset:         80
        .size:           8
        .value_kind:     hidden_global_offset_y
      - .offset:         88
        .size:           8
        .value_kind:     hidden_global_offset_z
      - .offset:         96
        .size:           2
        .value_kind:     hidden_grid_dims
    .group_segment_fixed_size: 64
    .kernarg_segment_align: 8
    .kernarg_segment_size: 288
    .language:       OpenCL C
    .language_version:
      - 2
      - 0
    .max_flat_workgroup_size: 256
    .name:           _Z6kernelI14exclusive_scanILN6hipcub18BlockScanAlgorithmE0EEN15benchmark_utils11custom_typeIddEELj256ELj8ELj100EEvPKT0_PS7_S7_
    .private_segment_fixed_size: 0
    .sgpr_count:     42
    .sgpr_spill_count: 0
    .symbol:         _Z6kernelI14exclusive_scanILN6hipcub18BlockScanAlgorithmE0EEN15benchmark_utils11custom_typeIddEELj256ELj8ELj100EEvPKT0_PS7_S7_.kd
    .uniform_work_group_size: 1
    .uses_dynamic_stack: false
    .vgpr_count:     52
    .vgpr_spill_count: 0
    .wavefront_size: 64
amdhsa.target:   amdgcn-amd-amdhsa--gfx942
amdhsa.version:
  - 1
  - 2
...

	.end_amdgpu_metadata
